;; amdgpu-corpus repo=ROCm/aiter kind=harvested arch=n/a opt=n/a

/root/src/amdgpu-assembly/repos/ROCm__aiter/hsa/gfx950/fmha_v3_bwd/bwd_hd64_bf16_a32_rtna_pssk_group.co:	file format elf64-amdgpu

Disassembly of section .text:

0000000000004000 <_ZN5aiter48fmha_bwd_hd64_bf16_a32_rtna_pssk_group_recompileE>:
	s_and_b32 s1, s1, 0xffff                                   // 000000004000: 8601FF01 0000FFFF
	s_load_dwordx2 s[32:33], s[0:1], 0x0                       // 000000004008: C0060800 00000000
	s_load_dwordx2 s[36:37], s[0:1], 0x10                      // 000000004010: C0060900 00000010
	s_load_dwordx2 s[40:41], s[0:1], 0x20                      // 000000004018: C0060A00 00000020
	s_load_dwordx2 s[8:9], s[0:1], 0x30                        // 000000004020: C0060200 00000030
	s_load_dwordx2 s[12:13], s[0:1], 0x40                      // 000000004028: C0060300 00000040
	s_load_dwordx2 s[16:17], s[0:1], 0x50                      // 000000004030: C0060400 00000050
	s_load_dwordx2 s[20:21], s[0:1], 0x60                      // 000000004038: C0060500 00000060
	s_load_dwordx2 s[24:25], s[0:1], 0x70                      // 000000004040: C0060600 00000070
	s_load_dwordx2 s[28:29], s[0:1], 0x80                      // 000000004048: C0060700 00000080
	s_load_dword s47, s[0:1], 0x90                             // 000000004050: C0020BC0 00000090
	s_load_dword s48, s[0:1], 0xa0                             // 000000004058: C0020C00 000000A0
	s_load_dword s75, s[0:1], 0xd0                             // 000000004060: C00212C0 000000D0
	s_load_dword s5, s[0:1], 0xf0                              // 000000004068: C0020140 000000F0
	s_load_dword s44, s[0:1], 0x100                            // 000000004070: C0020B00 00000100
	s_load_dword s76, s[0:1], 0x110                            // 000000004078: C0021300 00000110
	s_load_dword s6, s[0:1], 0x130                             // 000000004080: C0020180 00000130
	s_load_dword s52, s[0:1], 0x140                            // 000000004088: C0020D00 00000140
	s_load_dword s77, s[0:1], 0x190                            // 000000004090: C0021340 00000190
	s_load_dword s7, s[0:1], 0x1b0                             // 000000004098: C00201C0 000001B0
	s_load_dword s78, s[0:1], 0x1c0                            // 0000000040A0: C0021380 000001C0
	s_load_dword s51, s[0:1], 0x1e0                            // 0000000040A8: C0020CC0 000001E0
	s_load_dword s79, s[0:1], 0x1f0                            // 0000000040B0: C00213C0 000001F0
	s_load_dword s80, s[0:1], 0x210                            // 0000000040B8: C0021400 00000210
	s_load_dword s53, s[0:1], 0x230                            // 0000000040C0: C0020D40 00000230
	s_load_dword s49, s[0:1], 0x240                            // 0000000040C8: C0020C40 00000240
	s_load_dwordx2 s[88:89], s[0:1], 0x250                     // 0000000040D0: C0061600 00000250
	s_load_dwordx2 s[92:93], s[0:1], 0x260                     // 0000000040D8: C0061700 00000260
	s_load_dwordx2 s[96:97], s[0:1], 0x270                     // 0000000040E0: C0061800 00000270
	s_load_dwordx2 s[100:101], s[0:1], 0x280                   // 0000000040E8: C0061900 00000280
	v_lshrrev_b32_e32 v1, 10, v0                               // 0000000040F0: 2002008A
	v_lshrrev_b32_e32 v2, 10, v1                               // 0000000040F4: 2004028A
	v_and_b32_e32 v2, 0x3ff, v2                                // 0000000040F8: 260404FF 000003FF
	v_and_b32_e32 v1, 0x3ff, v1                                // 000000004100: 260202FF 000003FF
	v_and_b32_e32 v0, 0x3ff, v0                                // 000000004108: 260000FF 000003FF
	v_lshrrev_b32_e32 v3, 6, v0                                // 000000004110: 20060086
	v_and_b32_e32 v0, 63, v0                                   // 000000004114: 260000BF
	s_mov_b32 s2, s2                                           // 000000004118: BE820002
	s_mov_b32 s3, s3                                           // 00000000411C: BE830003
	s_mov_b32 s4, s4                                           // 000000004120: BE840004
	v_readfirstlane_b32 s46, v3                                // 000000004124: 7E5C0503
	s_waitcnt lgkmcnt(0)                                       // 000000004128: BF8CC07F
	s_mul_i32 s60, s4, 4                                       // 00000000412C: 923C8404
	s_add_u32 s88, s60, s88                                    // 000000004130: 8058583C
	s_addc_u32 s89, 0, s89                                     // 000000004134: 82595980
	s_load_dwordx2 s[82:83], s[88:89], 0x0                     // 000000004138: C00614AC 00000000
	s_add_u32 s96, s60, s96                                    // 000000004140: 8060603C
	s_addc_u32 s97, 0, s97                                     // 000000004144: 82616180
	s_load_dword s86, s[96:97], 0x0                            // 000000004148: C00215B0 00000000
	s_add_u32 s92, s60, s92                                    // 000000004150: 805C5C3C
	s_addc_u32 s93, 0, s93                                     // 000000004154: 825D5D80
	s_load_dwordx2 s[84:85], s[92:93], 0x0                     // 000000004158: C006152E 00000000
	s_add_u32 s100, s60, s100                                  // 000000004160: 8064643C
	s_addc_u32 s101, 0, s101                                   // 000000004164: 82656580
	s_load_dword s87, s[100:101], 0x0                          // 000000004168: C00215F2 00000000
	s_mov_b32 s11, 0x20000                                     // 000000004170: BE8B00FF 00020000
	s_mov_b32 s15, 0x20000                                     // 000000004178: BE8F00FF 00020000
	s_mov_b32 s19, 0x20000                                     // 000000004180: BE9300FF 00020000
	s_mov_b32 s23, 0x20000                                     // 000000004188: BE9700FF 00020000
	s_mov_b32 s27, 0x20000                                     // 000000004190: BE9B00FF 00020000
	s_mov_b32 s31, 0x20000                                     // 000000004198: BE9F00FF 00020000
	s_mov_b32 s35, 0x20000                                     // 0000000041A0: BEA300FF 00020000
	s_mov_b32 s39, 0x20000                                     // 0000000041A8: BEA700FF 00020000
	s_mov_b32 s43, 0x20000                                     // 0000000041B0: BEAB00FF 00020000
	s_and_b32 s9, s9, 0xffff                                   // 0000000041B8: 8609FF09 0000FFFF
	s_and_b32 s13, s13, 0xffff                                 // 0000000041C0: 860DFF0D 0000FFFF
	s_and_b32 s17, s17, 0xffff                                 // 0000000041C8: 8611FF11 0000FFFF
	s_and_b32 s21, s21, 0xffff                                 // 0000000041D0: 8615FF15 0000FFFF
	s_and_b32 s25, s25, 0xffff                                 // 0000000041D8: 8619FF19 0000FFFF
	s_and_b32 s29, s29, 0xffff                                 // 0000000041E0: 861DFF1D 0000FFFF
	s_and_b32 s33, s33, 0xffff                                 // 0000000041E8: 8621FF21 0000FFFF
	s_and_b32 s37, s37, 0xffff                                 // 0000000041F0: 8625FF25 0000FFFF
	s_and_b32 s41, s41, 0xffff                                 // 0000000041F8: 8629FF29 0000FFFF
	s_or_b32 s9, s9, 0x40000                                   // 000000004200: 8709FF09 00040000
	s_or_b32 s13, s13, 0x40000                                 // 000000004208: 870DFF0D 00040000
	s_or_b32 s17, s17, 0x40000                                 // 000000004210: 8711FF11 00040000
	s_or_b32 s21, s21, 0x40000                                 // 000000004218: 8715FF15 00040000
	s_or_b32 s25, s25, 0x40000                                 // 000000004220: 8719FF19 00040000
	s_or_b32 s29, s29, 0x40000                                 // 000000004228: 871DFF1D 00040000
	s_or_b32 s33, s33, 0x40000                                 // 000000004230: 8721FF21 00040000
	s_or_b32 s37, s37, 0x40000                                 // 000000004238: 8725FF25 00040000
	s_or_b32 s41, s41, 0x40000                                 // 000000004240: 8729FF29 00040000
	s_waitcnt lgkmcnt(0)                                       // 000000004248: BF8CC07F
	s_mul_i32 s61, s2, 0xc0                                    // 00000000424C: 923DFF02 000000C0
	s_sub_i32 s85, s85, s84                                    // 000000004254: 81D55455
	s_mov_b32 s84, s87                                         // 000000004258: BED40057
	s_sub_i32 s83, s83, s82                                    // 00000000425C: 81D35253
	s_mov_b32 s82, s86                                         // 000000004260: BED20056
	s_cmp_gt_i32 s83, 0                                        // 000000004264: BF028053
	s_cbranch_scc0 label_1D39                                  // 000000004268: BF841C7A
	s_mov_b32 s58, s83                                         // 00000000426C: BEBA0053
	s_mov_b32 s59, 0                                           // 000000004270: BEBB0080
	s_cmp_ge_i32 s61, s85                                      // 000000004274: BF03553D
	s_cbranch_scc1 label_1D39                                  // 000000004278: BF851C76
	v_accvgpr_write_b32 a159, 0                                // 00000000427C: D3D9409F 18000080
	v_mov_b32_e32 v234, 0                                      // 000000004284: 7FD40280
	s_mov_b32 s71, s3                                          // 000000004288: BEC70003
	v_cvt_f32_u32_e32 v32, s44                                 // 00000000428C: 7E400C2C
	s_sub_i32 s60, 0, s44                                      // 000000004290: 81BC2C80
	v_rcp_iflag_f32_e32 v32, v32                               // 000000004294: 7E404720
	s_nop 0                                                    // 000000004298: BF800000
	v_mul_f32_e32 v32, 0x4f7ffffe, v32                         // 00000000429C: 0A4040FF 4F7FFFFE
	v_cvt_u32_f32_e32 v32, v32                                 // 0000000042A4: 7E400F20
	v_mul_lo_u32 v33, s60, v32                                 // 0000000042A8: D2850021 0002403C
	v_mul_hi_u32 v33, v32, v33                                 // 0000000042B0: D2860021 00024320
	v_add_u32_e32 v32, v32, v33                                // 0000000042B8: 68404320
	v_mul_hi_u32 v32, s71, v32                                 // 0000000042BC: D2860020 00024047
	v_mul_lo_u32 v33, v32, s44                                 // 0000000042C4: D2850021 00005920
	v_sub_u32_e32 v35, s71, v33                                // 0000000042CC: 6A464247
	v_add_u32_e32 v34, 1, v32                                  // 0000000042D0: 68444081
	v_cmp_le_u32_e32 vcc, s44, v35                             // 0000000042D4: 7D96462C
	v_subrev_u32_e32 v33, s44, v35                             // 0000000042D8: 6C42462C
	s_nop 0                                                    // 0000000042DC: BF800000
	v_cndmask_b32_e32 v32, v32, v34, vcc                       // 0000000042E0: 00404520
	v_cndmask_b32_e32 v35, v35, v33, vcc                       // 0000000042E4: 00464323
	v_add_u32_e32 v33, 1, v32                                  // 0000000042E8: 68424081
	v_cmp_le_u32_e32 vcc, s44, v35                             // 0000000042EC: 7D96462C
	s_nop 1                                                    // 0000000042F0: BF800001
	v_cndmask_b32_e32 v35, v32, v33, vcc                       // 0000000042F4: 00464320
	s_nop 3                                                    // 0000000042F8: BF800003
	v_readfirstlane_b32 s45, v35                               // 0000000042FC: 7E5A0523
	s_nop 3                                                    // 000000004300: BF800003
	s_mov_b32 s88, s8                                          // 000000004304: BED80008
	s_mov_b32 s90, s12                                         // 000000004308: BEDA000C
	s_mov_b32 s92, s16                                         // 00000000430C: BEDC0010
	s_mov_b32 s94, s20                                         // 000000004310: BEDE0014
	s_mov_b32 s89, s9                                          // 000000004314: BED90009
	s_mov_b32 s91, s13                                         // 000000004318: BEDB000D
	s_mov_b32 s93, s17                                         // 00000000431C: BEDD0011
	s_mov_b32 s95, s21                                         // 000000004320: BEDF0015
	v_mov_b32_e32 v32, s47                                     // 000000004324: 7E40022F
	v_mul_f32_e32 v32, s48, v32                                // 000000004328: 0A404030
	s_mov_b32 s66, 0                                           // 00000000432C: BEC20080
	s_mov_b32 s63, 0x5040100                                   // 000000004330: BEBF00FF 05040100
	s_mov_b32 s64, 0x7060302                                   // 000000004338: BEC000FF 07060302
	v_readfirstlane_b32 s57, v32                               // 000000004340: 7E720520
	v_mov_b32_e32 v34, 0x3020706                               // 000000004344: 7E4402FF 03020706
	v_mov_b32_e32 v32, s63                                     // 00000000434C: 7E40023F
	v_and_b32_e32 v33, 1, v0                                   // 000000004350: 26420081
	v_cmp_eq_u32_e32 vcc, 1, v33                               // 000000004354: 7D944281
	s_mov_b32 s67, 0x800                                       // 000000004358: BEC300FF 00000800
	v_cndmask_b32_e32 v17, v32, v34, vcc                       // 000000004360: 00224520
	v_mov_b32_e32 v230, 0xff800000                             // 000000004364: 7FCC02FF FF800000
	s_mul_i32 s68, 8, s5                                       // 00000000436C: 92440588
	s_mul_i32 s81, 8, s51                                      // 000000004370: 92513388
	s_mov_b32 s69, 32                                          // 000000004374: BEC500A0
	s_mul_i32 s60, s6, 0xc0                                    // 000000004378: 923CFF06 000000C0
	s_mul_i32 s60, s2, s60                                     // 000000004380: 923C3C02
	s_mul_i32 s61, s45, s76                                    // 000000004384: 923D4C2D
	s_add_u32 s54, s60, s61                                    // 000000004388: 80363D3C
	s_mul_i32 s60, s2, 0xc0                                    // 00000000438C: 923CFF02 000000C0
	s_sub_i32 s60, s85, s60                                    // 000000004394: 81BC3C55
	s_mul_i32 s60, s6, s60                                     // 000000004398: 923C3C06
	s_lshr_b32 s60, s60, 2                                     // 00000000439C: 8F3C823C
	s_mov_b32 s14, s60                                         // 0000000043A0: BE8E003C
	s_add_u32 s12, s54, s90                                    // 0000000043A4: 800C5A36
	s_addc_u32 s13, 0, s91                                     // 0000000043A8: 820D5B80
	s_mul_i32 s60, s84, s6                                     // 0000000043AC: 923C0654
	s_mul_hi_u32 s61, s84, s6                                  // 0000000043B0: 963D0654
	s_and_b32 s61, s61, 0xffff                                 // 0000000043B4: 863DFF3D 0000FFFF
	s_add_u32 s12, s12, s60                                    // 0000000043BC: 800C3C0C
	s_addc_u32 s13, s13, s61                                   // 0000000043C0: 820D3D0D
	s_mul_i32 s60, s7, 0xc0                                    // 0000000043C4: 923CFF07 000000C0
	s_mul_i32 s60, s2, s60                                     // 0000000043CC: 923C3C02
	s_mul_i32 s61, s45, s77                                    // 0000000043D0: 923D4D2D
	s_add_u32 s54, s60, s61                                    // 0000000043D4: 80363D3C
	s_mul_i32 s60, s2, 0xc0                                    // 0000000043D8: 923CFF02 000000C0
	s_sub_i32 s60, s85, s60                                    // 0000000043E0: 81BC3C55
	s_mul_i32 s60, s7, s60                                     // 0000000043E4: 923C3C07
	s_lshr_b32 s60, s60, 2                                     // 0000000043E8: 8F3C823C
	s_mov_b32 s18, s60                                         // 0000000043EC: BE92003C
	s_add_u32 s16, s54, s92                                    // 0000000043F0: 80105C36
	s_addc_u32 s17, 0, s93                                     // 0000000043F4: 82115D80
	s_mul_i32 s60, s84, s7                                     // 0000000043F8: 923C0754
	s_mul_hi_u32 s61, s84, s7                                  // 0000000043FC: 963D0754
	s_and_b32 s61, s61, 0xffff                                 // 000000004400: 863DFF3D 0000FFFF
	s_add_u32 s16, s16, s60                                    // 000000004408: 80103C10
	s_addc_u32 s17, s17, s61                                   // 00000000440C: 82113D11
	s_mul_i32 s61, s3, s75                                     // 000000004410: 923D4B03
	s_mov_b32 s55, s61                                         // 000000004414: BEB7003D
	s_mul_i32 s60, s5, s83                                     // 000000004418: 923C5305
	s_lshr_b32 s60, s60, 2                                     // 00000000441C: 8F3C823C
	s_mov_b32 s10, s60                                         // 000000004420: BE8A003C
	s_add_u32 s8, s55, s88                                     // 000000004424: 80085837
	s_addc_u32 s9, 0, s89                                      // 000000004428: 82095980
	s_mul_i32 s60, s82, s5                                     // 00000000442C: 923C0552
	s_mul_hi_u32 s61, s82, s5                                  // 000000004430: 963D0552
	s_and_b32 s61, s61, 0xffff                                 // 000000004434: 863DFF3D 0000FFFF
	s_add_u32 s8, s8, s60                                      // 00000000443C: 80083C08
	s_addc_u32 s9, s9, s61                                     // 000000004440: 82093D09
	s_mul_i32 s61, s3, s78                                     // 000000004444: 923D4E03
	s_mov_b32 s56, s61                                         // 000000004448: BEB8003D
	s_mul_i32 s60, s51, s83                                    // 00000000444C: 923C5333
	s_lshr_b32 s60, s60, 2                                     // 000000004450: 8F3C823C
	s_mov_b32 s22, s60                                         // 000000004454: BE96003C
	s_add_u32 s20, s56, s94                                    // 000000004458: 80145E38
	s_addc_u32 s21, 0, s95                                     // 00000000445C: 82155F80
	s_mul_i32 s60, s82, s51                                    // 000000004460: 923C3352
	s_mul_hi_u32 s61, s82, s51                                 // 000000004464: 963D3352
	s_and_b32 s61, s61, 0xffff                                 // 000000004468: 863DFF3D 0000FFFF
	s_add_u32 s20, s20, s60                                    // 000000004470: 80143C14
	s_addc_u32 s21, s21, s61                                   // 000000004474: 82153D15
	s_mul_i32 s62, 4, s82                                      // 000000004478: 923E5284
	s_mul_i32 s61, s3, s49                                     // 00000000447C: 923D3103
	s_add_u32 s65, s61, s62                                    // 000000004480: 80413E3D
	s_mul_i32 s60, 4, s83                                      // 000000004484: 923C5384
	s_add_u32 s60, s60, s61                                    // 000000004488: 803C3D3C
	s_add_u32 s60, s60, s62                                    // 00000000448C: 803C3E3C
	s_lshr_b32 s60, s60, 2                                     // 000000004490: 8F3C823C
	s_mov_b32 s26, s60                                         // 000000004494: BE9A003C
	s_mov_b32 s30, s60                                         // 000000004498: BE9E003C
	s_cmp_lt_u32 s46, 2                                        // 00000000449C: BF0A822E
	s_cselect_b32 s24, s24, s28                                // 0000000044A0: 85181C18
	s_cselect_b32 s25, s25, s29                                // 0000000044A4: 85191D19
	s_cselect_b32 s26, s26, s30                                // 0000000044A8: 851A1E1A
	s_cselect_b32 s27, s27, s31                                // 0000000044AC: 851B1F1B
	s_mov_b32 s71, s6                                          // 0000000044B0: BEC70006
	v_lshrrev_b32_e32 v32, 4, v0                               // 0000000044B4: 20400084
	v_and_b32_e32 v33, 1, v32                                  // 0000000044B8: 26424081
	v_lshlrev_b32_e32 v33, 1, v33                              // 0000000044BC: 24424281
	v_mul_i32_i24_e32 v33, s71, v33                            // 0000000044C0: 0C424247
	v_and_b32_e32 v34, 2, v32                                  // 0000000044C4: 26444082
	v_lshlrev_b32_e32 v34, 5, v34                              // 0000000044C8: 24444485
	v_add_u32_e32 v33, v34, v33                                // 0000000044CC: 68424322
	v_and_b32_e32 v32, 15, v0                                  // 0000000044D0: 2640008F
	v_lshlrev_b32_e32 v32, 2, v32                              // 0000000044D4: 24404082
	v_add_u32_e32 v1, v32, v33                                 // 0000000044D8: 68024320
	s_mul_i32 s60, s46, s71                                    // 0000000044DC: 923C472E
	s_mul_i32 s60, s60, 4                                      // 0000000044E0: 923C843C
	v_add_u32_e32 v1, s60, v1                                  // 0000000044E4: 6802023C
	v_add_u32_e32 v2, s71, v1                                  // 0000000044E8: 68040247
	s_mul_i32 s60, 16, s71                                     // 0000000044EC: 923C4790
	v_add_u32_e32 v3, s60, v1                                  // 0000000044F0: 6806023C
	v_add_u32_e32 v4, s60, v2                                  // 0000000044F4: 6808043C
	s_mov_b32 s71, s7                                          // 0000000044F8: BEC70007
	v_lshrrev_b32_e32 v32, 4, v0                               // 0000000044FC: 20400084
	v_and_b32_e32 v33, 1, v32                                  // 000000004500: 26424081
	v_lshlrev_b32_e32 v33, 1, v33                              // 000000004504: 24424281
	v_mul_i32_i24_e32 v33, s71, v33                            // 000000004508: 0C424247
	v_and_b32_e32 v34, 2, v32                                  // 00000000450C: 26444082
	v_lshlrev_b32_e32 v34, 5, v34                              // 000000004510: 24444485
	v_add_u32_e32 v33, v34, v33                                // 000000004514: 68424322
	v_and_b32_e32 v32, 15, v0                                  // 000000004518: 2640008F
	v_lshlrev_b32_e32 v32, 2, v32                              // 00000000451C: 24404082
	v_add_u32_e32 v231, v32, v33                               // 000000004520: 69CE4320
	s_mul_i32 s60, s46, s71                                    // 000000004524: 923C472E
	s_mul_i32 s60, s60, 4                                      // 000000004528: 923C843C
	v_add_u32_e32 v231, s60, v231                              // 00000000452C: 69CFCE3C
	v_add_u32_e32 v232, s71, v231                              // 000000004530: 69D1CE47
	s_mul_i32 s60, 16, s71                                     // 000000004534: 923C4790
	v_add_u32_e32 v233, s60, v231                              // 000000004538: 69D3CE3C
	v_add_u32_e32 v234, s60, v232                              // 00000000453C: 69D5D03C
	v_lshrrev_b32_e32 v1, 2, v1                                // 000000004540: 20020282
	v_lshrrev_b32_e32 v2, 2, v2                                // 000000004544: 20040482
	v_lshrrev_b32_e32 v231, 2, v231                            // 000000004548: 21CFCE82
	v_lshrrev_b32_e32 v232, 2, v232                            // 00000000454C: 21D1D082
	v_and_b32_e32 v11, 31, v0                                  // 000000004550: 2616009F
	v_lshlrev_b32_e32 v11, 2, v11                              // 000000004554: 24161682
	v_add_u32_e32 v11, s65, v11                                // 000000004558: 68161641
	v_lshrrev_b32_e32 v11, 2, v11                              // 00000000455C: 20161682
	s_mov_b32 s70, s52                                         // 000000004560: BEC60034
	v_lshrrev_b32_e32 v32, 3, v0                               // 000000004564: 20400083
	v_mul_i32_i24_e32 v5, s70, v32                             // 000000004568: 0C0A4046
	v_lshrrev_b32_e32 v5, 2, v5                                // 00000000456C: 200A0A82
	v_and_b32_e32 v32, 7, v0                                   // 000000004570: 26400087
	v_lshlrev_b32_e32 v33, 2, v32                              // 000000004574: 24424082
	v_add_u32_e32 v5, v33, v5                                  // 000000004578: 680A0B21
	s_mul_i32 s60, 16, s70                                     // 00000000457C: 923C4690
	s_mul_i32 s60, s46, s60                                    // 000000004580: 923C3C2E
	v_lshlrev_b32_e32 v5, 2, v5                                // 000000004584: 240A0A82
	v_add_u32_e32 v5, s60, v5                                  // 000000004588: 680A0A3C
	s_mul_i32 s60, 0xc0, s52                                   // 00000000458C: 923C34FF 000000C0
	s_mul_i32 s60, s2, s60                                     // 000000004594: 923C3C02
	s_mul_i32 s61, s3, s79                                     // 000000004598: 923D4F03
	s_mul_i32 s62, s84, s52                                    // 00000000459C: 923E3454
	s_add_u32 s60, s60, s61                                    // 0000000045A0: 803C3D3C
	v_add_u32_e32 v5, s60, v5                                  // 0000000045A4: 680A0A3C
	v_lshrrev_b32_e32 v5, 2, v5                                // 0000000045A8: 200A0A82
	s_mul_i32 s60, s85, s52                                    // 0000000045AC: 923C3455
	s_add_u32 s60, s60, s61                                    // 0000000045B0: 803C3D3C
	s_lshr_b32 s60, s60, 2                                     // 0000000045B4: 8F3C823C
	s_mov_b32 s38, s60                                         // 0000000045B8: BEA6003C
	s_mul_hi_u32 s60, s84, s52                                 // 0000000045BC: 963C3454
	s_and_b32 s60, s60, 0xffff                                 // 0000000045C0: 863CFF3C 0000FFFF
	s_add_u32 s36, s62, s36                                    // 0000000045C8: 8024243E
	s_addc_u32 s37, s60, s37                                   // 0000000045CC: 8225253C
	s_mov_b32 s70, s53                                         // 0000000045D0: BEC60035
	v_lshrrev_b32_e32 v32, 3, v0                               // 0000000045D4: 20400083
	v_mul_i32_i24_e32 v10, s70, v32                            // 0000000045D8: 0C144046
	v_lshrrev_b32_e32 v10, 2, v10                              // 0000000045DC: 20141482
	v_and_b32_e32 v32, 7, v0                                   // 0000000045E0: 26400087
	v_lshlrev_b32_e32 v33, 2, v32                              // 0000000045E4: 24424082
	v_add_u32_e32 v10, v33, v10                                // 0000000045E8: 68141521
	s_mul_i32 s60, 16, s70                                     // 0000000045EC: 923C4690
	s_mul_i32 s60, s46, s60                                    // 0000000045F0: 923C3C2E
	v_lshlrev_b32_e32 v10, 2, v10                              // 0000000045F4: 24141482
	v_add_u32_e32 v10, s60, v10                                // 0000000045F8: 6814143C
	s_mul_i32 s60, 0xc0, s53                                   // 0000000045FC: 923C35FF 000000C0
	s_mul_i32 s60, s2, s60                                     // 000000004604: 923C3C02
	s_mul_i32 s61, s3, s80                                     // 000000004608: 923D5003
	s_mul_i32 s62, s84, s53                                    // 00000000460C: 923E3554
	s_add_u32 s60, s60, s61                                    // 000000004610: 803C3D3C
	v_add_u32_e32 v10, s60, v10                                // 000000004614: 6814143C
	v_lshrrev_b32_e32 v10, 2, v10                              // 000000004618: 20141482
	s_mul_i32 s60, s85, s53                                    // 00000000461C: 923C3555
	s_add_u32 s60, s60, s61                                    // 000000004620: 803C3D3C
	s_lshr_b32 s60, s60, 2                                     // 000000004624: 8F3C823C
	s_mov_b32 s42, s60                                         // 000000004628: BEAA003C
	s_mul_hi_u32 s60, s84, s53                                 // 00000000462C: 963C3554
	s_and_b32 s60, s60, 0xffff                                 // 000000004630: 863CFF3C 0000FFFF
	s_add_u32 s40, s62, s40                                    // 000000004638: 8028283E
	s_addc_u32 s41, s60, s41                                   // 00000000463C: 8229293C
	v_lshrrev_b32_e32 v32, 5, v0                               // 000000004640: 20400085
	v_mul_i32_i24_e32 v6, 0x80, v32                            // 000000004644: 0C0C40FF 00000080
	v_and_b32_e32 v32, 31, v0                                  // 00000000464C: 2640009F
	v_add_u32_e32 v6, v32, v6                                  // 000000004650: 680C0D20
	s_mul_i32 s60, s46, 0x100                                  // 000000004654: 923CFF2E 00000100
	v_add_u32_e32 v6, s60, v6                                  // 00000000465C: 680C0C3C
	v_lshlrev_b32_e32 v6, 2, v6                                // 000000004660: 240C0C82
	v_add_u32_e32 v7, 0x100, v6                                // 000000004664: 680E0CFF 00000100
	v_add_u32_e32 v8, 0x1000, v6                               // 00000000466C: 68100CFF 00001000
	v_add_u32_e32 v9, 0x1000, v7                               // 000000004674: 68120EFF 00001000
	s_mul_i32 s72, 64, s65                                     // 00000000467C: 924841C0
	s_mul_hi_u32 s62, 64, s65                                  // 000000004680: 963E41C0
	s_and_b32 s62, s62, 0xffff                                 // 000000004684: 863EFF3E 0000FFFF
	s_add_u32 s32, s72, s32                                    // 00000000468C: 80202048
	s_addc_u32 s33, s62, s33                                   // 000000004690: 8221213E
	s_mul_i32 s60, 64, s83                                     // 000000004694: 923C53C0
	s_mov_b32 s34, s60                                         // 000000004698: BEA2003C
	v_lshrrev_b32_e32 v6, 2, v6                                // 00000000469C: 200C0C82
	v_lshrrev_b32_e32 v7, 2, v7                                // 0000000046A0: 200E0E82
	v_lshrrev_b32_e32 v8, 2, v8                                // 0000000046A4: 20101082
	v_lshrrev_b32_e32 v9, 2, v9                                // 0000000046A8: 20121282
	s_mul_i32 s60, 3, s2                                       // 0000000046AC: 923C0283
	s_add_u32 s61, s85, 63                                     // 0000000046B0: 803DBF55
	s_lshr_b32 s61, s61, 6                                     // 0000000046B4: 8F3D863D
	s_sub_i32 s73, s61, s60                                    // 0000000046B8: 81C93C3D
	s_cmp_lt_i32 s73, 3                                        // 0000000046BC: BF048349
	s_cselect_b32 s73, s73, 3                                  // 0000000046C0: 85498349
	v_mov_b32_e32 v227, 0xffff0000                             // 0000000046C4: 7FC602FF FFFF0000
	v_mov_b32_e32 v228, 0x7fff0000                             // 0000000046CC: 7FC802FF 7FFF0000
	v_mov_b32_e32 v229, 0x7fff                                 // 0000000046D4: 7FCA02FF 00007FFF
	s_mul_i32 s60, 0xc0, s2                                    // 0000000046DC: 923C02FF 000000C0
	s_sub_i32 s83, s85, s60                                    // 0000000046E4: 81D33C55
	s_lshr_b32 s60, s46, 1                                     // 0000000046E8: 8F3C812E
	s_lshl_b32 s60, s60, 8                                     // 0000000046EC: 8E3C883C
	s_add_u32 s76, 0x9a00, s60                                 // 0000000046F0: 804C3CFF 00009A00
	s_add_u32 s77, 0x200, s76                                  // 0000000046F8: 804D4CFF 00000200
	s_mov_b32 m0, s76                                          // 000000004700: BEFC004C
	v_and_b32_e32 v32, 31, v0                                  // 000000004704: 2640009F
	v_lshrrev_b32_e32 v32, 1, v32                              // 000000004708: 20404081
	v_and_b32_e32 v33, 1, v32                                  // 00000000470C: 26424081
	v_lshlrev_b32_e32 v33, 4, v33                              // 000000004710: 24424284
	v_and_b32_e32 v34, 2, v32                                  // 000000004714: 26444082
	v_lshlrev_b32_e32 v34, 2, v34                              // 000000004718: 24444482
	v_add_u32_e32 v33, v34, v33                                // 00000000471C: 68424322
	v_and_b32_e32 v34, 12, v32                                 // 000000004720: 2644408C
	v_lshrrev_b32_e32 v34, 1, v34                              // 000000004724: 20444481
	v_add_u32_e32 v33, v34, v33                                // 000000004728: 68424322
	v_lshrrev_b32_e32 v32, 5, v0                               // 00000000472C: 20400085
	v_mul_i32_i24_e32 v34, 0x80, v32                           // 000000004730: 0C4440FF 00000080
	v_add_u32_e32 v33, v34, v33                                // 000000004738: 68424322
	v_and_b32_e32 v34, 1, v0                                   // 00000000473C: 26440081
	v_add_u32_e32 v13, v34, v33                                // 000000004740: 681A4322
	s_mul_i32 s60, s46, 32                                     // 000000004744: 923CA02E
	v_add_u32_e32 v13, s60, v13                                // 000000004748: 681A1A3C
	v_lshlrev_b32_e32 v13, 2, v13                              // 00000000474C: 241A1A82
	v_lshrrev_b32_e32 v32, 4, v0                               // 000000004750: 20400084
	v_and_b32_e32 v33, 1, v32                                  // 000000004754: 26424081
	v_lshlrev_b32_e32 v33, 4, v33                              // 000000004758: 24424284
	v_and_b32_e32 v34, 2, v32                                  // 00000000475C: 26444082
	v_mul_i32_i24_e32 v34, 4, v34                              // 000000004760: 0C444484
	v_add_u32_e32 v33, v34, v33                                // 000000004764: 68424322
	v_and_b32_e32 v32, 15, v0                                  // 000000004768: 2640008F
	v_lshrrev_b32_e32 v34, 2, v32                              // 00000000476C: 20444082
	v_lshlrev_b32_e32 v34, 5, v34                              // 000000004770: 24444485
	v_add_u32_e32 v33, v34, v33                                // 000000004774: 68424322
	v_and_b32_e32 v32, 3, v0                                   // 000000004778: 26400083
	v_and_b32_e32 v34, 1, v32                                  // 00000000477C: 26444081
	v_mul_i32_i24_e32 v34, 0x108, v34                          // 000000004780: 0C4444FF 00000108
	v_add_u32_e32 v33, v34, v33                                // 000000004788: 68424322
	v_and_b32_e32 v34, 2, v32                                  // 00000000478C: 26444082
	v_lshlrev_b32_e32 v34, 1, v34                              // 000000004790: 24444481
	v_add_u32_e32 v12, v34, v33                                // 000000004794: 68184322
	v_lshlrev_b32_e32 v12, 2, v12                              // 000000004798: 24181882
	s_mul_i32 s60, s46, 0x880                                  // 00000000479C: 923CFF2E 00000880
	v_add_u32_e32 v24, s60, v12                                // 0000000047A4: 6830183C
	v_lshrrev_b32_e32 v32, 5, v0                               // 0000000047A8: 20400085
	v_mul_i32_i24_e32 v15, 0x80, v32                           // 0000000047AC: 0C1E40FF 00000080
	v_and_b32_e32 v32, 31, v0                                  // 0000000047B4: 2640009F
	v_and_b32_e32 v33, 7, v32                                  // 0000000047B8: 26424087
	v_and_b32_e32 v34, 1, v33                                  // 0000000047BC: 26444281
	v_lshlrev_b32_e32 v34, 2, v34                              // 0000000047C0: 24444482
	v_add_u32_e32 v15, v34, v15                                // 0000000047C4: 681E1F22
	v_and_b32_e32 v34, 2, v33                                  // 0000000047C8: 26444282
	v_lshlrev_b32_e32 v34, 3, v34                              // 0000000047CC: 24444483
	v_add_u32_e32 v15, v34, v15                                // 0000000047D0: 681E1F22
	v_and_b32_e32 v34, 4, v33                                  // 0000000047D4: 26444284
	v_lshlrev_b32_e32 v34, 1, v34                              // 0000000047D8: 24444481
	v_add_u32_e32 v15, v34, v15                                // 0000000047DC: 681E1F22
	v_lshrrev_b32_e32 v33, 3, v32                              // 0000000047E0: 20424083
	v_and_b32_e32 v34, 1, v33                                  // 0000000047E4: 26444281
	v_lshlrev_b32_e32 v34, 1, v34                              // 0000000047E8: 24444481
	v_add_u32_e32 v15, v34, v15                                // 0000000047EC: 681E1F22
	v_and_b32_e32 v34, 2, v33                                  // 0000000047F0: 26444282
	v_lshrrev_b32_e32 v34, 1, v34                              // 0000000047F4: 20444481
	v_add_u32_e32 v15, v34, v15                                // 0000000047F8: 681E1F22
	s_mul_i32 s60, s46, 32                                     // 0000000047FC: 923CA02E
	v_add_u32_e32 v15, s60, v15                                // 000000004800: 681E1E3C
	v_lshlrev_b32_e32 v15, 2, v15                              // 000000004804: 241E1E82
	v_and_b32_e32 v32, 15, v0                                  // 000000004808: 2640008F
	v_and_b32_e32 v34, 1, v32                                  // 00000000480C: 26444081
	v_mul_i32_i24_e32 v14, 0x108, v34                          // 000000004810: 0C1C44FF 00000108
	v_and_b32_e32 v34, 2, v32                                  // 000000004818: 26444082
	v_lshlrev_b32_e32 v34, 1, v34                              // 00000000481C: 24444481
	v_add_u32_e32 v14, v34, v14                                // 000000004820: 681C1D22
	v_and_b32_e32 v34, 4, v32                                  // 000000004824: 26444084
	v_lshlrev_b32_e32 v34, 2, v34                              // 000000004828: 24444482
	v_add_u32_e32 v14, v34, v14                                // 00000000482C: 681C1D22
	v_and_b32_e32 v34, 8, v32                                  // 000000004830: 26444088
	v_add_u32_e32 v14, v34, v14                                // 000000004834: 681C1D22
	v_lshrrev_b32_e32 v32, 4, v0                               // 000000004838: 20400084
	v_and_b32_e32 v34, 1, v32                                  // 00000000483C: 26444081
	v_lshlrev_b32_e32 v34, 5, v34                              // 000000004840: 24444485
	v_add_u32_e32 v14, v34, v14                                // 000000004844: 681C1D22
	v_and_b32_e32 v33, 2, v32                                  // 000000004848: 26424082
	v_mul_i32_i24_e32 v34, 32, v33                             // 00000000484C: 0C4442A0
	v_mul_i32_i24_e32 v33, 0x110, v33                          // 000000004850: 0C4242FF 00000110
	v_add_u32_e32 v25, v33, v14                                // 000000004858: 68321D21
	v_add_u32_e32 v14, v34, v14                                // 00000000485C: 681C1D22
	v_lshlrev_b32_e32 v14, 2, v14                              // 000000004860: 241C1C82
	v_lshlrev_b32_e32 v25, 2, v25                              // 000000004864: 24323282
	s_and_b32 s60, 1, s46                                      // 000000004868: 863C2E81
	s_mul_i32 s60, s60, 0x200                                  // 00000000486C: 923CFF3C 00000200
	v_add_u32_e32 v25, s60, v25                                // 000000004874: 6832323C
	v_lshrrev_b32_e32 v32, 4, v0                               // 000000004878: 20400084
	v_mul_i32_i24_e32 v23, 4, v32                              // 00000000487C: 0C2E4084
	v_and_b32_e32 v33, 3, v0                                   // 000000004880: 26420083
	v_add_u32_e32 v23, v33, v23                                // 000000004884: 682E2F21
	v_lshlrev_b32_e32 v23, 2, v23                              // 000000004888: 242E2E82
	v_lshrrev_b32_e32 v32, 4, v0                               // 00000000488C: 20400084
	v_and_b32_e32 v33, 1, v32                                  // 000000004890: 26424081
	v_mul_i32_i24_e32 v21, 0x100, v33                          // 000000004894: 0C2A42FF 00000100
	v_and_b32_e32 v33, 2, v32                                  // 00000000489C: 26424082
	v_mul_i32_i24_e32 v33, 64, v33                             // 0000000048A0: 0C4242C0
	v_add_u32_e32 v21, v33, v21                                // 0000000048A4: 682A2B21
	v_and_b32_e32 v32, 15, v0                                  // 0000000048A8: 2640008F
	v_mul_i32_i24_e32 v33, 2, v32                              // 0000000048AC: 0C424082
	v_add_u32_e32 v21, v33, v21                                // 0000000048B0: 682A2B21
	s_mul_i32 s60, s46, 32                                     // 0000000048B4: 923CA02E
	v_add_u32_e32 v21, s60, v21                                // 0000000048B8: 682A2A3C
	v_lshlrev_b32_e32 v21, 2, v21                              // 0000000048BC: 242A2A82
	v_lshlrev_b32_e32 v22, 1, v0                               // 0000000048C0: 242C0081
	s_mul_i32 s60, s46, 0x200                                  // 0000000048C4: 923CFF2E 00000200
	v_add_u32_e32 v22, s60, v22                                // 0000000048CC: 682C2C3C
	v_lshlrev_b32_e32 v22, 2, v22                              // 0000000048D0: 242C2C82
	v_lshrrev_b32_e32 v32, 5, v0                               // 0000000048D4: 20400085
	v_mul_i32_i24_e32 v19, 64, v32                             // 0000000048D8: 0C2640C0
	v_and_b32_e32 v32, 31, v0                                  // 0000000048DC: 2640009F
	v_and_b32_e32 v32, 3, v32                                  // 0000000048E0: 26404083
	v_and_b32_e32 v33, 1, v32                                  // 0000000048E4: 26424081
	v_mul_i32_i24_e32 v33, 4, v33                              // 0000000048E8: 0C424284
	v_add_u32_e32 v19, v33, v19                                // 0000000048EC: 68262721
	v_and_b32_e32 v33, 2, v32                                  // 0000000048F0: 26424082
	v_mul_i32_i24_e32 v33, 0x44, v33                           // 0000000048F4: 0C4242FF 00000044
	v_add_u32_e32 v19, v33, v19                                // 0000000048FC: 68262721
	v_and_b32_e32 v32, 31, v0                                  // 000000004900: 2640009F
	v_lshrrev_b32_e32 v32, 2, v32                              // 000000004904: 20404082
	v_lshrrev_b32_e32 v34, 2, v32                              // 000000004908: 20444082
	v_mul_i32_i24_e32 v33, 16, v34                             // 00000000490C: 0C424490
	v_add_u32_e32 v19, v33, v19                                // 000000004910: 68262721
	v_and_b32_e32 v33, 2, v32                                  // 000000004914: 26424082
	v_lshlrev_b32_e32 v33, 4, v33                              // 000000004918: 24424284
	v_add_u32_e32 v19, v33, v19                                // 00000000491C: 68262721
	v_and_b32_e32 v33, 1, v32                                  // 000000004920: 26424081
	v_xor_b32_e32 v33, v34, v33                                // 000000004924: 2A424322
	v_mul_i32_i24_e32 v33, 8, v33                              // 000000004928: 0C424288
	v_add_u32_e32 v19, v33, v19                                // 00000000492C: 68262721
	s_lshr_b32 s60, s46, 1                                     // 000000004930: 8F3C812E
	s_mul_i32 s60, s60, 0x6c0                                  // 000000004934: 923CFF3C 000006C0
	v_add_u32_e32 v19, s60, v19                                // 00000000493C: 6826263C
	v_lshlrev_b32_e32 v19, 2, v19                              // 000000004940: 24262682
	v_lshrrev_b32_e32 v32, 5, v0                               // 000000004944: 20400085
	v_mul_i32_i24_e32 v20, 32, v32                             // 000000004948: 0C2840A0
	v_and_b32_e32 v32, 31, v0                                  // 00000000494C: 2640009F
	v_and_b32_e32 v32, 3, v32                                  // 000000004950: 26404083
	v_and_b32_e32 v33, 1, v32                                  // 000000004954: 26424081
	v_mul_i32_i24_e32 v33, 4, v33                              // 000000004958: 0C424284
	v_add_u32_e32 v20, v33, v20                                // 00000000495C: 68282921
	v_and_b32_e32 v33, 2, v32                                  // 000000004960: 26424082
	v_lshrrev_b32_e32 v33, 1, v33                              // 000000004964: 20424281
	v_add_u32_e32 v20, v33, v20                                // 000000004968: 68282921
	v_and_b32_e32 v32, 31, v0                                  // 00000000496C: 2640009F
	v_lshrrev_b32_e32 v32, 2, v32                              // 000000004970: 20404082
	v_and_b32_e32 v34, 1, v32                                  // 000000004974: 26444081
	v_mul_i32_i24_e32 v33, 16, v34                             // 000000004978: 0C424490
	v_add_u32_e32 v20, v33, v20                                // 00000000497C: 68282921
	v_and_b32_e32 v33, 2, v32                                  // 000000004980: 26424082
	v_add_u32_e32 v20, v33, v20                                // 000000004984: 68282921
	v_lshrrev_b32_e32 v33, 2, v32                              // 000000004988: 20424082
	v_xor_b32_e32 v33, v34, v33                                // 00000000498C: 2A424322
	v_mul_i32_i24_e32 v33, 8, v33                              // 000000004990: 0C424288
	v_add_u32_e32 v20, v33, v20                                // 000000004994: 68282921
	s_and_b32 s60, 1, s46                                      // 000000004998: 863C2E81
	s_mul_i32 s60, s60, 64                                     // 00000000499C: 923CC03C
	s_lshr_b32 s61, s46, 1                                     // 0000000049A0: 8F3D812E
	s_mul_i32 s61, s61, 0x120                                  // 0000000049A4: 923DFF3D 00000120
	s_add_u32 s60, s60, s61                                    // 0000000049AC: 803C3D3C
	v_add_u32_e32 v20, s60, v20                                // 0000000049B0: 6828283C
	v_lshlrev_b32_e32 v20, 2, v20                              // 0000000049B4: 24282882
	buffer_load_dword v178, v1, s[12:15], 0 idxen              // 0000000049B8: E0502000 8003B201
	buffer_load_dword v179, v2, s[12:15], 0 idxen              // 0000000049C0: E0502000 8003B302
	s_mul_i32 s60, 4, s6                                       // 0000000049C8: 923C0684
	s_cmp_lt_i32 0, s73                                        // 0000000049CC: BF044980
	s_cselect_b32 s60, s60, 0                                  // 0000000049D0: 853C803C
	v_add_u32_e32 v1, s60, v1                                  // 0000000049D4: 6802023C
	v_add_u32_e32 v2, s60, v2                                  // 0000000049D8: 6804043C
	buffer_load_dword v180, v1, s[12:15], 0 idxen              // 0000000049DC: E0502000 8003B401
	buffer_load_dword v181, v2, s[12:15], 0 idxen              // 0000000049E4: E0502000 8003B502
	s_mul_i32 s60, 4, s6                                       // 0000000049EC: 923C0684
	s_cmp_lt_i32 0, s73                                        // 0000000049F0: BF044980
	s_cselect_b32 s60, s60, 0                                  // 0000000049F4: 853C803C
	v_add_u32_e32 v1, s60, v1                                  // 0000000049F8: 6802023C
	v_add_u32_e32 v2, s60, v2                                  // 0000000049FC: 6804043C
	buffer_load_dword v182, v1, s[12:15], 0 idxen              // 000000004A00: E0502000 8003B601
	buffer_load_dword v183, v2, s[12:15], 0 idxen              // 000000004A08: E0502000 8003B702
	s_mul_i32 s60, 4, s6                                       // 000000004A10: 923C0684
	s_cmp_lt_i32 0, s73                                        // 000000004A14: BF044980
	s_cselect_b32 s60, s60, 0                                  // 000000004A18: 853C803C
	v_add_u32_e32 v1, s60, v1                                  // 000000004A1C: 6802023C
	v_add_u32_e32 v2, s60, v2                                  // 000000004A20: 6804043C
	buffer_load_dword v184, v1, s[12:15], 0 idxen              // 000000004A24: E0502000 8003B801
	buffer_load_dword v185, v2, s[12:15], 0 idxen              // 000000004A2C: E0502000 8003B902
	s_mul_i32 s60, 4, s6                                       // 000000004A34: 923C0684
	s_cmp_lt_i32 1, s73                                        // 000000004A38: BF044981
	s_cselect_b32 s60, s60, 0                                  // 000000004A3C: 853C803C
	v_add_u32_e32 v1, s60, v1                                  // 000000004A40: 6802023C
	v_add_u32_e32 v2, s60, v2                                  // 000000004A44: 6804043C
	buffer_load_dword v186, v1, s[12:15], 0 idxen              // 000000004A48: E0502000 8003BA01
	buffer_load_dword v187, v2, s[12:15], 0 idxen              // 000000004A50: E0502000 8003BB02
	s_mul_i32 s60, 4, s6                                       // 000000004A58: 923C0684
	s_cmp_lt_i32 1, s73                                        // 000000004A5C: BF044981
	s_cselect_b32 s60, s60, 0                                  // 000000004A60: 853C803C
	v_add_u32_e32 v1, s60, v1                                  // 000000004A64: 6802023C
	v_add_u32_e32 v2, s60, v2                                  // 000000004A68: 6804043C
	buffer_load_dword v188, v1, s[12:15], 0 idxen              // 000000004A6C: E0502000 8003BC01
	buffer_load_dword v189, v2, s[12:15], 0 idxen              // 000000004A74: E0502000 8003BD02
	s_mul_i32 s60, 4, s6                                       // 000000004A7C: 923C0684
	s_cmp_lt_i32 1, s73                                        // 000000004A80: BF044981
	s_cselect_b32 s60, s60, 0                                  // 000000004A84: 853C803C
	v_add_u32_e32 v1, s60, v1                                  // 000000004A88: 6802023C
	v_add_u32_e32 v2, s60, v2                                  // 000000004A8C: 6804043C
	buffer_load_dword v190, v1, s[12:15], 0 idxen              // 000000004A90: E0502000 8003BE01
	buffer_load_dword v191, v2, s[12:15], 0 idxen              // 000000004A98: E0502000 8003BF02
	s_mul_i32 s60, 4, s6                                       // 000000004AA0: 923C0684
	s_cmp_lt_i32 1, s73                                        // 000000004AA4: BF044981
	s_cselect_b32 s60, s60, 0                                  // 000000004AA8: 853C803C
	v_add_u32_e32 v1, s60, v1                                  // 000000004AAC: 6802023C
	v_add_u32_e32 v2, s60, v2                                  // 000000004AB0: 6804043C
	buffer_load_dword v192, v1, s[12:15], 0 idxen              // 000000004AB4: E0502000 8003C001
	buffer_load_dword v193, v2, s[12:15], 0 idxen              // 000000004ABC: E0502000 8003C102
	s_mul_i32 s60, 4, s6                                       // 000000004AC4: 923C0684
	s_cmp_lt_i32 2, s73                                        // 000000004AC8: BF044982
	s_cselect_b32 s60, s60, 0                                  // 000000004ACC: 853C803C
	v_add_u32_e32 v1, s60, v1                                  // 000000004AD0: 6802023C
	v_add_u32_e32 v2, s60, v2                                  // 000000004AD4: 6804043C
	buffer_load_dword v194, v1, s[12:15], 0 idxen              // 000000004AD8: E0502000 8003C201
	buffer_load_dword v195, v2, s[12:15], 0 idxen              // 000000004AE0: E0502000 8003C302
	s_mul_i32 s60, 4, s6                                       // 000000004AE8: 923C0684
	s_cmp_lt_i32 2, s73                                        // 000000004AEC: BF044982
	s_cselect_b32 s60, s60, 0                                  // 000000004AF0: 853C803C
	v_add_u32_e32 v1, s60, v1                                  // 000000004AF4: 6802023C
	v_add_u32_e32 v2, s60, v2                                  // 000000004AF8: 6804043C
	buffer_load_dword v196, v1, s[12:15], 0 idxen              // 000000004AFC: E0502000 8003C401
	buffer_load_dword v197, v2, s[12:15], 0 idxen              // 000000004B04: E0502000 8003C502
	s_mul_i32 s60, 4, s6                                       // 000000004B0C: 923C0684
	s_cmp_lt_i32 2, s73                                        // 000000004B10: BF044982
	s_cselect_b32 s60, s60, 0                                  // 000000004B14: 853C803C
	v_add_u32_e32 v1, s60, v1                                  // 000000004B18: 6802023C
	v_add_u32_e32 v2, s60, v2                                  // 000000004B1C: 6804043C
	buffer_load_dword v198, v1, s[12:15], 0 idxen              // 000000004B20: E0502000 8003C601
	buffer_load_dword v199, v2, s[12:15], 0 idxen              // 000000004B28: E0502000 8003C702
	s_mul_i32 s60, 4, s6                                       // 000000004B30: 923C0684
	s_cmp_lt_i32 2, s73                                        // 000000004B34: BF044982
	s_cselect_b32 s60, s60, 0                                  // 000000004B38: 853C803C
	v_add_u32_e32 v1, s60, v1                                  // 000000004B3C: 6802023C
	v_add_u32_e32 v2, s60, v2                                  // 000000004B40: 6804043C
	buffer_load_dword v200, v1, s[12:15], 0 idxen              // 000000004B44: E0502000 8003C801
	buffer_load_dword v201, v2, s[12:15], 0 idxen              // 000000004B4C: E0502000 8003C902
	s_mul_i32 s60, 4, s6                                       // 000000004B54: 923C0684
	s_cmp_lt_i32 3, s73                                        // 000000004B58: BF044983
	s_cselect_b32 s60, s60, 0                                  // 000000004B5C: 853C803C
	v_add_u32_e32 v1, s60, v1                                  // 000000004B60: 6802023C
	v_add_u32_e32 v2, s60, v2                                  // 000000004B64: 6804043C
	s_waitcnt vmcnt(16) lgkmcnt(0)                             // 000000004B68: BF8C4070
	s_barrier                                                  // 000000004B6C: BF8A0000
	s_cmp_lt_i32 0, s73                                        // 000000004B70: BF044980
	s_cbranch_scc1 label_02E6                                  // 000000004B74: BF850008
	v_mov_b32_e32 v178, 0                                      // 000000004B78: 7F640280
	v_mov_b32_e32 v179, 0                                      // 000000004B7C: 7F660280
	v_mov_b32_e32 v180, 0                                      // 000000004B80: 7F680280
	v_mov_b32_e32 v181, 0                                      // 000000004B84: 7F6A0280
	v_mov_b32_e32 v182, 0                                      // 000000004B88: 7F6C0280
	v_mov_b32_e32 v183, 0                                      // 000000004B8C: 7F6E0280
	v_mov_b32_e32 v184, 0                                      // 000000004B90: 7F700280
	v_mov_b32_e32 v185, 0                                      // 000000004B94: 7F720280

0000000000004b98 <label_02E6>:
	v_perm_b32 v202, v179, v178, s63                           // 000000004B98: D1ED00CA 00FF65B3
	v_perm_b32 v203, v179, v178, s64                           // 000000004BA0: D1ED00CB 010365B3
	v_perm_b32 v204, v181, v180, s63                           // 000000004BA8: D1ED00CC 00FF69B5
	v_perm_b32 v205, v181, v180, s64                           // 000000004BB0: D1ED00CD 010369B5
	v_perm_b32 v206, v183, v182, s63                           // 000000004BB8: D1ED00CE 00FF6DB7
	v_perm_b32 v207, v183, v182, s64                           // 000000004BC0: D1ED00CF 01036DB7
	v_perm_b32 v208, v185, v184, s63                           // 000000004BC8: D1ED00D0 00FF71B9
	v_perm_b32 v209, v185, v184, s64                           // 000000004BD0: D1ED00D1 010371B9
	ds_write_b32 v15, v202 offset:8704                         // 000000004BD8: D81A2200 0000CA0F
	ds_write_b32 v15, v203 offset:9760                         // 000000004BE0: D81A2620 0000CB0F
	ds_write_b32 v15, v204 offset:10880                        // 000000004BE8: D81A2A80 0000CC0F
	ds_write_b32 v15, v205 offset:11936                        // 000000004BF0: D81A2EA0 0000CD0F
	ds_write_b32 v15, v206 offset:13056                        // 000000004BF8: D81A3300 0000CE0F
	ds_write_b32 v15, v207 offset:14112                        // 000000004C00: D81A3720 0000CF0F
	ds_write_b32 v15, v208 offset:15232                        // 000000004C08: D81A3B80 0000D00F
	ds_write_b32 v15, v209 offset:16288                        // 000000004C10: D81A3FA0 0000D10F
	ds_write_b32 v13, v178                                     // 000000004C18: D81A0000 0000B20D
	ds_write_b32 v13, v179 offset:1056                         // 000000004C20: D81A0420 0000B30D
	ds_write_b32 v13, v180 offset:2176                         // 000000004C28: D81A0880 0000B40D
	ds_write_b32 v13, v181 offset:3232                         // 000000004C30: D81A0CA0 0000B50D
	ds_write_b32 v13, v182 offset:4352                         // 000000004C38: D81A1100 0000B60D
	ds_write_b32 v13, v183 offset:5408                         // 000000004C40: D81A1520 0000B70D
	ds_write_b32 v13, v184 offset:6528                         // 000000004C48: D81A1980 0000B80D
	ds_write_b32 v13, v185 offset:7584                         // 000000004C50: D81A1DA0 0000B90D
	buffer_load_dword v178, v231, s[16:19], 0 idxen            // 000000004C58: E0502000 8004B2E7
	buffer_load_dword v179, v232, s[16:19], 0 idxen            // 000000004C60: E0502000 8004B3E8
	s_mul_i32 s60, 4, s7                                       // 000000004C68: 923C0784
	s_cmp_lt_i32 0, s73                                        // 000000004C6C: BF044980
	s_cselect_b32 s60, s60, 0                                  // 000000004C70: 853C803C
	v_add_u32_e32 v231, s60, v231                              // 000000004C74: 69CFCE3C
	v_add_u32_e32 v232, s60, v232                              // 000000004C78: 69D1D03C
	buffer_load_dword v180, v231, s[16:19], 0 idxen            // 000000004C7C: E0502000 8004B4E7
	buffer_load_dword v181, v232, s[16:19], 0 idxen            // 000000004C84: E0502000 8004B5E8
	s_mul_i32 s60, 4, s7                                       // 000000004C8C: 923C0784
	s_cmp_lt_i32 0, s73                                        // 000000004C90: BF044980
	s_cselect_b32 s60, s60, 0                                  // 000000004C94: 853C803C
	v_add_u32_e32 v231, s60, v231                              // 000000004C98: 69CFCE3C
	v_add_u32_e32 v232, s60, v232                              // 000000004C9C: 69D1D03C
	buffer_load_dword v182, v231, s[16:19], 0 idxen            // 000000004CA0: E0502000 8004B6E7
	buffer_load_dword v183, v232, s[16:19], 0 idxen            // 000000004CA8: E0502000 8004B7E8
	s_mul_i32 s60, 4, s7                                       // 000000004CB0: 923C0784
	s_cmp_lt_i32 0, s73                                        // 000000004CB4: BF044980
	s_cselect_b32 s60, s60, 0                                  // 000000004CB8: 853C803C
	v_add_u32_e32 v231, s60, v231                              // 000000004CBC: 69CFCE3C
	v_add_u32_e32 v232, s60, v232                              // 000000004CC0: 69D1D03C
	buffer_load_dword v184, v231, s[16:19], 0 idxen            // 000000004CC4: E0502000 8004B8E7
	buffer_load_dword v185, v232, s[16:19], 0 idxen            // 000000004CCC: E0502000 8004B9E8
	s_mul_i32 s60, 4, s7                                       // 000000004CD4: 923C0784
	s_cmp_lt_i32 1, s73                                        // 000000004CD8: BF044981
	s_cselect_b32 s60, s60, 0                                  // 000000004CDC: 853C803C
	v_add_u32_e32 v231, s60, v231                              // 000000004CE0: 69CFCE3C
	v_add_u32_e32 v232, s60, v232                              // 000000004CE4: 69D1D03C
	s_waitcnt lgkmcnt(0)                                       // 000000004CE8: BF8CC07F
	s_barrier                                                  // 000000004CEC: BF8A0000
	ds_read_b128 a[24:27], v25 offset:8704                     // 000000004CF0: DBFE2200 18000019
	ds_read_b128 a[28:31], v25 offset:8960                     // 000000004CF8: DBFE2300 1C000019
	ds_read_b128 a[32:35], v25 offset:13056                    // 000000004D00: DBFE3300 20000019
	ds_read_b128 a[36:39], v25 offset:13312                    // 000000004D08: DBFE3400 24000019
	ds_read_b128 a[0:3], v24                                   // 000000004D10: DBFE0000 00000018
	ds_read_b128 a[4:7], v24 offset:512                        // 000000004D18: DBFE0200 04000018
	s_waitcnt vmcnt(16) lgkmcnt(0)                             // 000000004D20: BF8C4070
	s_barrier                                                  // 000000004D24: BF8A0000
	s_cmp_lt_i32 1, s73                                        // 000000004D28: BF044981
	s_cbranch_scc1 label_0354                                  // 000000004D2C: BF850008
	v_mov_b32_e32 v186, 0                                      // 000000004D30: 7F740280
	v_mov_b32_e32 v187, 0                                      // 000000004D34: 7F760280
	v_mov_b32_e32 v188, 0                                      // 000000004D38: 7F780280
	v_mov_b32_e32 v189, 0                                      // 000000004D3C: 7F7A0280
	v_mov_b32_e32 v190, 0                                      // 000000004D40: 7F7C0280
	v_mov_b32_e32 v191, 0                                      // 000000004D44: 7F7E0280
	v_mov_b32_e32 v192, 0                                      // 000000004D48: 7F800280
	v_mov_b32_e32 v193, 0                                      // 000000004D4C: 7F820280

0000000000004d50 <label_0354>:
	v_perm_b32 v202, v187, v186, s63                           // 000000004D50: D1ED00CA 00FF75BB
	v_perm_b32 v203, v187, v186, s64                           // 000000004D58: D1ED00CB 010375BB
	v_perm_b32 v204, v189, v188, s63                           // 000000004D60: D1ED00CC 00FF79BD
	v_perm_b32 v205, v189, v188, s64                           // 000000004D68: D1ED00CD 010379BD
	v_perm_b32 v206, v191, v190, s63                           // 000000004D70: D1ED00CE 00FF7DBF
	v_perm_b32 v207, v191, v190, s64                           // 000000004D78: D1ED00CF 01037DBF
	v_perm_b32 v208, v193, v192, s63                           // 000000004D80: D1ED00D0 00FF81C1
	v_perm_b32 v209, v193, v192, s64                           // 000000004D88: D1ED00D1 010381C1
	ds_write_b32 v15, v202 offset:8704                         // 000000004D90: D81A2200 0000CA0F
	ds_write_b32 v15, v203 offset:9760                         // 000000004D98: D81A2620 0000CB0F
	ds_write_b32 v15, v204 offset:10880                        // 000000004DA0: D81A2A80 0000CC0F
	ds_write_b32 v15, v205 offset:11936                        // 000000004DA8: D81A2EA0 0000CD0F
	ds_write_b32 v15, v206 offset:13056                        // 000000004DB0: D81A3300 0000CE0F
	ds_write_b32 v15, v207 offset:14112                        // 000000004DB8: D81A3720 0000CF0F
	ds_write_b32 v15, v208 offset:15232                        // 000000004DC0: D81A3B80 0000D00F
	ds_write_b32 v15, v209 offset:16288                        // 000000004DC8: D81A3FA0 0000D10F
	ds_write_b32 v13, v186                                     // 000000004DD0: D81A0000 0000BA0D
	ds_write_b32 v13, v187 offset:1056                         // 000000004DD8: D81A0420 0000BB0D
	ds_write_b32 v13, v188 offset:2176                         // 000000004DE0: D81A0880 0000BC0D
	ds_write_b32 v13, v189 offset:3232                         // 000000004DE8: D81A0CA0 0000BD0D
	ds_write_b32 v13, v190 offset:4352                         // 000000004DF0: D81A1100 0000BE0D
	ds_write_b32 v13, v191 offset:5408                         // 000000004DF8: D81A1520 0000BF0D
	ds_write_b32 v13, v192 offset:6528                         // 000000004E00: D81A1980 0000C00D
	ds_write_b32 v13, v193 offset:7584                         // 000000004E08: D81A1DA0 0000C10D
	buffer_load_dword v186, v231, s[16:19], 0 idxen            // 000000004E10: E0502000 8004BAE7
	buffer_load_dword v187, v232, s[16:19], 0 idxen            // 000000004E18: E0502000 8004BBE8
	s_mul_i32 s60, 4, s7                                       // 000000004E20: 923C0784
	s_cmp_lt_i32 1, s73                                        // 000000004E24: BF044981
	s_cselect_b32 s60, s60, 0                                  // 000000004E28: 853C803C
	v_add_u32_e32 v231, s60, v231                              // 000000004E2C: 69CFCE3C
	v_add_u32_e32 v232, s60, v232                              // 000000004E30: 69D1D03C
	buffer_load_dword v188, v231, s[16:19], 0 idxen            // 000000004E34: E0502000 8004BCE7
	buffer_load_dword v189, v232, s[16:19], 0 idxen            // 000000004E3C: E0502000 8004BDE8
	s_mul_i32 s60, 4, s7                                       // 000000004E44: 923C0784
	s_cmp_lt_i32 1, s73                                        // 000000004E48: BF044981
	s_cselect_b32 s60, s60, 0                                  // 000000004E4C: 853C803C
	v_add_u32_e32 v231, s60, v231                              // 000000004E50: 69CFCE3C
	v_add_u32_e32 v232, s60, v232                              // 000000004E54: 69D1D03C
	buffer_load_dword v190, v231, s[16:19], 0 idxen            // 000000004E58: E0502000 8004BEE7
	buffer_load_dword v191, v232, s[16:19], 0 idxen            // 000000004E60: E0502000 8004BFE8
	s_mul_i32 s60, 4, s7                                       // 000000004E68: 923C0784
	s_cmp_lt_i32 1, s73                                        // 000000004E6C: BF044981
	s_cselect_b32 s60, s60, 0                                  // 000000004E70: 853C803C
	v_add_u32_e32 v231, s60, v231                              // 000000004E74: 69CFCE3C
	v_add_u32_e32 v232, s60, v232                              // 000000004E78: 69D1D03C
	buffer_load_dword v192, v231, s[16:19], 0 idxen            // 000000004E7C: E0502000 8004C0E7
	buffer_load_dword v193, v232, s[16:19], 0 idxen            // 000000004E84: E0502000 8004C1E8
	s_mul_i32 s60, 4, s7                                       // 000000004E8C: 923C0784
	s_cmp_lt_i32 2, s73                                        // 000000004E90: BF044982
	s_cselect_b32 s60, s60, 0                                  // 000000004E94: 853C803C
	v_add_u32_e32 v231, s60, v231                              // 000000004E98: 69CFCE3C
	v_add_u32_e32 v232, s60, v232                              // 000000004E9C: 69D1D03C
	s_waitcnt lgkmcnt(0)                                       // 000000004EA0: BF8CC07F
	s_barrier                                                  // 000000004EA4: BF8A0000
	ds_read_b128 a[40:43], v25 offset:8704                     // 000000004EA8: DBFE2200 28000019
	ds_read_b128 a[44:47], v25 offset:8960                     // 000000004EB0: DBFE2300 2C000019
	ds_read_b128 a[48:51], v25 offset:13056                    // 000000004EB8: DBFE3300 30000019
	ds_read_b128 a[52:55], v25 offset:13312                    // 000000004EC0: DBFE3400 34000019
	ds_read_b128 a[8:11], v24                                  // 000000004EC8: DBFE0000 08000018
	ds_read_b128 a[12:15], v24 offset:512                      // 000000004ED0: DBFE0200 0C000018
	s_waitcnt vmcnt(16) lgkmcnt(0)                             // 000000004ED8: BF8C4070
	s_barrier                                                  // 000000004EDC: BF8A0000
	s_cmp_lt_i32 2, s73                                        // 000000004EE0: BF044982
	s_cbranch_scc1 label_03C2                                  // 000000004EE4: BF850008
	v_mov_b32_e32 v194, 0                                      // 000000004EE8: 7F840280
	v_mov_b32_e32 v195, 0                                      // 000000004EEC: 7F860280
	v_mov_b32_e32 v196, 0                                      // 000000004EF0: 7F880280
	v_mov_b32_e32 v197, 0                                      // 000000004EF4: 7F8A0280
	v_mov_b32_e32 v198, 0                                      // 000000004EF8: 7F8C0280
	v_mov_b32_e32 v199, 0                                      // 000000004EFC: 7F8E0280
	v_mov_b32_e32 v200, 0                                      // 000000004F00: 7F900280
	v_mov_b32_e32 v201, 0                                      // 000000004F04: 7F920280

0000000000004f08 <label_03C2>:
	v_perm_b32 v202, v195, v194, s63                           // 000000004F08: D1ED00CA 00FF85C3
	v_perm_b32 v203, v195, v194, s64                           // 000000004F10: D1ED00CB 010385C3
	v_perm_b32 v204, v197, v196, s63                           // 000000004F18: D1ED00CC 00FF89C5
	v_perm_b32 v205, v197, v196, s64                           // 000000004F20: D1ED00CD 010389C5
	v_perm_b32 v206, v199, v198, s63                           // 000000004F28: D1ED00CE 00FF8DC7
	v_perm_b32 v207, v199, v198, s64                           // 000000004F30: D1ED00CF 01038DC7
	v_perm_b32 v208, v201, v200, s63                           // 000000004F38: D1ED00D0 00FF91C9
	v_perm_b32 v209, v201, v200, s64                           // 000000004F40: D1ED00D1 010391C9
	ds_write_b32 v15, v202 offset:8704                         // 000000004F48: D81A2200 0000CA0F
	ds_write_b32 v15, v203 offset:9760                         // 000000004F50: D81A2620 0000CB0F
	ds_write_b32 v15, v204 offset:10880                        // 000000004F58: D81A2A80 0000CC0F
	ds_write_b32 v15, v205 offset:11936                        // 000000004F60: D81A2EA0 0000CD0F
	ds_write_b32 v15, v206 offset:13056                        // 000000004F68: D81A3300 0000CE0F
	ds_write_b32 v15, v207 offset:14112                        // 000000004F70: D81A3720 0000CF0F
	ds_write_b32 v15, v208 offset:15232                        // 000000004F78: D81A3B80 0000D00F
	ds_write_b32 v15, v209 offset:16288                        // 000000004F80: D81A3FA0 0000D10F
	ds_write_b32 v13, v194                                     // 000000004F88: D81A0000 0000C20D
	ds_write_b32 v13, v195 offset:1056                         // 000000004F90: D81A0420 0000C30D
	ds_write_b32 v13, v196 offset:2176                         // 000000004F98: D81A0880 0000C40D
	ds_write_b32 v13, v197 offset:3232                         // 000000004FA0: D81A0CA0 0000C50D
	ds_write_b32 v13, v198 offset:4352                         // 000000004FA8: D81A1100 0000C60D
	ds_write_b32 v13, v199 offset:5408                         // 000000004FB0: D81A1520 0000C70D
	ds_write_b32 v13, v200 offset:6528                         // 000000004FB8: D81A1980 0000C80D
	ds_write_b32 v13, v201 offset:7584                         // 000000004FC0: D81A1DA0 0000C90D
	buffer_load_dword v194, v231, s[16:19], 0 idxen            // 000000004FC8: E0502000 8004C2E7
	buffer_load_dword v195, v232, s[16:19], 0 idxen            // 000000004FD0: E0502000 8004C3E8
	s_mul_i32 s60, 4, s7                                       // 000000004FD8: 923C0784
	s_cmp_lt_i32 2, s73                                        // 000000004FDC: BF044982
	s_cselect_b32 s60, s60, 0                                  // 000000004FE0: 853C803C
	v_add_u32_e32 v231, s60, v231                              // 000000004FE4: 69CFCE3C
	v_add_u32_e32 v232, s60, v232                              // 000000004FE8: 69D1D03C
	buffer_load_dword v196, v231, s[16:19], 0 idxen            // 000000004FEC: E0502000 8004C4E7
	buffer_load_dword v197, v232, s[16:19], 0 idxen            // 000000004FF4: E0502000 8004C5E8
	s_mul_i32 s60, 4, s7                                       // 000000004FFC: 923C0784
	s_cmp_lt_i32 2, s73                                        // 000000005000: BF044982
	s_cselect_b32 s60, s60, 0                                  // 000000005004: 853C803C
	v_add_u32_e32 v231, s60, v231                              // 000000005008: 69CFCE3C
	v_add_u32_e32 v232, s60, v232                              // 00000000500C: 69D1D03C
	buffer_load_dword v198, v231, s[16:19], 0 idxen            // 000000005010: E0502000 8004C6E7
	buffer_load_dword v199, v232, s[16:19], 0 idxen            // 000000005018: E0502000 8004C7E8
	s_mul_i32 s60, 4, s7                                       // 000000005020: 923C0784
	s_cmp_lt_i32 2, s73                                        // 000000005024: BF044982
	s_cselect_b32 s60, s60, 0                                  // 000000005028: 853C803C
	v_add_u32_e32 v231, s60, v231                              // 00000000502C: 69CFCE3C
	v_add_u32_e32 v232, s60, v232                              // 000000005030: 69D1D03C
	buffer_load_dword v200, v231, s[16:19], 0 idxen            // 000000005034: E0502000 8004C8E7
	buffer_load_dword v201, v232, s[16:19], 0 idxen            // 00000000503C: E0502000 8004C9E8
	s_mul_i32 s60, 4, s7                                       // 000000005044: 923C0784
	s_cmp_lt_i32 3, s73                                        // 000000005048: BF044983
	s_cselect_b32 s60, s60, 0                                  // 00000000504C: 853C803C
	v_add_u32_e32 v231, s60, v231                              // 000000005050: 69CFCE3C
	v_add_u32_e32 v232, s60, v232                              // 000000005054: 69D1D03C
	s_waitcnt lgkmcnt(0)                                       // 000000005058: BF8CC07F
	s_barrier                                                  // 00000000505C: BF8A0000
	ds_read_b128 a[56:59], v25 offset:8704                     // 000000005060: DBFE2200 38000019
	ds_read_b128 a[60:63], v25 offset:8960                     // 000000005068: DBFE2300 3C000019
	ds_read_b128 a[64:67], v25 offset:13056                    // 000000005070: DBFE3300 40000019
	ds_read_b128 a[68:71], v25 offset:13312                    // 000000005078: DBFE3400 44000019
	ds_read_b128 a[16:19], v24                                 // 000000005080: DBFE0000 10000018
	ds_read_b128 a[20:23], v24 offset:512                      // 000000005088: DBFE0200 14000018
	s_waitcnt vmcnt(16) lgkmcnt(0)                             // 000000005090: BF8C4070
	s_barrier                                                  // 000000005094: BF8A0000
	s_cmp_lt_i32 0, s73                                        // 000000005098: BF044980
	s_cbranch_scc1 label_0430                                  // 00000000509C: BF850008
	v_mov_b32_e32 v178, 0                                      // 0000000050A0: 7F640280
	v_mov_b32_e32 v179, 0                                      // 0000000050A4: 7F660280
	v_mov_b32_e32 v180, 0                                      // 0000000050A8: 7F680280
	v_mov_b32_e32 v181, 0                                      // 0000000050AC: 7F6A0280
	v_mov_b32_e32 v182, 0                                      // 0000000050B0: 7F6C0280
	v_mov_b32_e32 v183, 0                                      // 0000000050B4: 7F6E0280
	v_mov_b32_e32 v184, 0                                      // 0000000050B8: 7F700280
	v_mov_b32_e32 v185, 0                                      // 0000000050BC: 7F720280

00000000000050c0 <label_0430>:
	ds_write_b32 v13, v178                                     // 0000000050C0: D81A0000 0000B20D
	ds_write_b32 v13, v179 offset:1056                         // 0000000050C8: D81A0420 0000B30D
	ds_write_b32 v13, v180 offset:2176                         // 0000000050D0: D81A0880 0000B40D
	ds_write_b32 v13, v181 offset:3232                         // 0000000050D8: D81A0CA0 0000B50D
	ds_write_b32 v13, v182 offset:4352                         // 0000000050E0: D81A1100 0000B60D
	ds_write_b32 v13, v183 offset:5408                         // 0000000050E8: D81A1520 0000B70D
	ds_write_b32 v13, v184 offset:6528                         // 0000000050F0: D81A1980 0000B80D
	ds_write_b32 v13, v185 offset:7584                         // 0000000050F8: D81A1DA0 0000B90D
	s_mov_b32 s71, s5                                          // 000000005100: BEC70005
	v_lshrrev_b32_e32 v32, 4, v0                               // 000000005104: 20400084
	v_and_b32_e32 v33, 1, v32                                  // 000000005108: 26424081
	v_lshlrev_b32_e32 v33, 1, v33                              // 00000000510C: 24424281
	v_mul_i32_i24_e32 v33, s71, v33                            // 000000005110: 0C424247
	v_and_b32_e32 v34, 2, v32                                  // 000000005114: 26444082
	v_lshlrev_b32_e32 v34, 5, v34                              // 000000005118: 24444485
	v_add_u32_e32 v33, v34, v33                                // 00000000511C: 68424322
	v_and_b32_e32 v32, 15, v0                                  // 000000005120: 2640008F
	v_lshlrev_b32_e32 v32, 2, v32                              // 000000005124: 24404082
	v_add_u32_e32 v1, v32, v33                                 // 000000005128: 68024320
	s_mul_i32 s60, s46, s71                                    // 00000000512C: 923C472E
	s_mul_i32 s60, s60, 4                                      // 000000005130: 923C843C
	v_add_u32_e32 v1, s60, v1                                  // 000000005134: 6802023C
	v_add_u32_e32 v2, s71, v1                                  // 000000005138: 68040247
	s_mul_i32 s60, 16, s71                                     // 00000000513C: 923C4790
	v_add_u32_e32 v3, s60, v1                                  // 000000005140: 6806023C
	v_add_u32_e32 v4, s60, v2                                  // 000000005144: 6808043C
	s_mov_b32 s71, s51                                         // 000000005148: BEC70033
	v_lshrrev_b32_e32 v32, 4, v0                               // 00000000514C: 20400084
	v_and_b32_e32 v33, 1, v32                                  // 000000005150: 26424081
	v_lshlrev_b32_e32 v33, 1, v33                              // 000000005154: 24424281
	v_mul_i32_i24_e32 v33, s71, v33                            // 000000005158: 0C424247
	v_and_b32_e32 v34, 2, v32                                  // 00000000515C: 26444082
	v_lshlrev_b32_e32 v34, 5, v34                              // 000000005160: 24444485
	v_add_u32_e32 v33, v34, v33                                // 000000005164: 68424322
	v_and_b32_e32 v32, 15, v0                                  // 000000005168: 2640008F
	v_lshlrev_b32_e32 v32, 2, v32                              // 00000000516C: 24404082
	v_add_u32_e32 v231, v32, v33                               // 000000005170: 69CE4320
	s_mul_i32 s60, s46, s71                                    // 000000005174: 923C472E
	s_mul_i32 s60, s60, 4                                      // 000000005178: 923C843C
	v_add_u32_e32 v231, s60, v231                              // 00000000517C: 69CFCE3C
	v_add_u32_e32 v232, s71, v231                              // 000000005180: 69D1CE47
	s_mul_i32 s60, 16, s71                                     // 000000005184: 923C4790
	v_add_u32_e32 v233, s60, v231                              // 000000005188: 69D3CE3C
	v_add_u32_e32 v234, s60, v232                              // 00000000518C: 69D5D03C
	v_lshrrev_b32_e32 v1, 2, v1                                // 000000005190: 20020282
	v_lshrrev_b32_e32 v2, 2, v2                                // 000000005194: 20040482
	v_lshrrev_b32_e32 v3, 2, v3                                // 000000005198: 20060682
	v_lshrrev_b32_e32 v4, 2, v4                                // 00000000519C: 20080882
	v_lshrrev_b32_e32 v231, 2, v231                            // 0000000051A0: 21CFCE82
	v_lshrrev_b32_e32 v232, 2, v232                            // 0000000051A4: 21D1D082
	v_lshrrev_b32_e32 v233, 2, v233                            // 0000000051A8: 21D3D282
	v_lshrrev_b32_e32 v234, 2, v234                            // 0000000051AC: 21D5D482
	buffer_load_dword v36, v1, s[8:11], 0 idxen                // 0000000051B0: E0502000 80022401
	buffer_load_dword v37, v2, s[8:11], 0 idxen                // 0000000051B8: E0502000 80022502
	buffer_load_dword v38, v3, s[8:11], 0 idxen                // 0000000051C0: E0502000 80022603
	buffer_load_dword v39, v4, s[8:11], 0 idxen                // 0000000051C8: E0502000 80022704
	buffer_load_dword v44, v231, s[20:23], 0 idxen             // 0000000051D0: E0502000 80052CE7
	buffer_load_dword v45, v232, s[20:23], 0 idxen             // 0000000051D8: E0502000 80052DE8
	buffer_load_dword v46, v233, s[20:23], 0 idxen             // 0000000051E0: E0502000 80052EE9
	buffer_load_dword v47, v234, s[20:23], 0 idxen             // 0000000051E8: E0502000 80052FEA
	s_waitcnt lgkmcnt(0)                                       // 0000000051F0: BF8CC07F
	s_barrier                                                  // 0000000051F4: BF8A0000
	ds_read_b128 a[72:75], v24                                 // 0000000051F8: DBFE0000 48000018
	ds_read_b128 a[76:79], v24 offset:512                      // 000000005200: DBFE0200 4C000018
	v_add_u32_e32 v1, s68, v1                                  // 000000005208: 68020244
	v_add_u32_e32 v2, s68, v2                                  // 00000000520C: 68040444
	v_add_u32_e32 v3, s68, v3                                  // 000000005210: 68060644
	v_add_u32_e32 v4, s68, v4                                  // 000000005214: 68080844
	v_add_u32_e32 v231, s81, v231                              // 000000005218: 69CFCE51
	v_add_u32_e32 v232, s81, v232                              // 00000000521C: 69D1D051
	v_add_u32_e32 v233, s81, v233                              // 000000005220: 69D3D251
	v_add_u32_e32 v234, s81, v234                              // 000000005224: 69D5D451
	s_waitcnt vmcnt(16) lgkmcnt(0)                             // 000000005228: BF8C4070
	s_barrier                                                  // 00000000522C: BF8A0000
	s_cmp_lt_i32 1, s73                                        // 000000005230: BF044981
	s_cbranch_scc1 label_0496                                  // 000000005234: BF850008
	v_mov_b32_e32 v186, 0                                      // 000000005238: 7F740280
	v_mov_b32_e32 v187, 0                                      // 00000000523C: 7F760280
	v_mov_b32_e32 v188, 0                                      // 000000005240: 7F780280
	v_mov_b32_e32 v189, 0                                      // 000000005244: 7F7A0280
	v_mov_b32_e32 v190, 0                                      // 000000005248: 7F7C0280
	v_mov_b32_e32 v191, 0                                      // 00000000524C: 7F7E0280
	v_mov_b32_e32 v192, 0                                      // 000000005250: 7F800280
	v_mov_b32_e32 v193, 0                                      // 000000005254: 7F820280

0000000000005258 <label_0496>:
	ds_write_b32 v13, v186                                     // 000000005258: D81A0000 0000BA0D
	ds_write_b32 v13, v187 offset:1056                         // 000000005260: D81A0420 0000BB0D
	ds_write_b32 v13, v188 offset:2176                         // 000000005268: D81A0880 0000BC0D
	ds_write_b32 v13, v189 offset:3232                         // 000000005270: D81A0CA0 0000BD0D
	ds_write_b32 v13, v190 offset:4352                         // 000000005278: D81A1100 0000BE0D
	ds_write_b32 v13, v191 offset:5408                         // 000000005280: D81A1520 0000BF0D
	ds_write_b32 v13, v192 offset:6528                         // 000000005288: D81A1980 0000C00D
	ds_write_b32 v13, v193 offset:7584                         // 000000005290: D81A1DA0 0000C10D
	buffer_load_dword v40, v1, s[8:11], 0 idxen                // 000000005298: E0502000 80022801
	buffer_load_dword v41, v2, s[8:11], 0 idxen                // 0000000052A0: E0502000 80022902
	buffer_load_dword v42, v3, s[8:11], 0 idxen                // 0000000052A8: E0502000 80022A03
	buffer_load_dword v43, v4, s[8:11], 0 idxen                // 0000000052B0: E0502000 80022B04
	buffer_load_dword v48, v231, s[20:23], 0 idxen             // 0000000052B8: E0502000 800530E7
	buffer_load_dword v49, v232, s[20:23], 0 idxen             // 0000000052C0: E0502000 800531E8
	buffer_load_dword v50, v233, s[20:23], 0 idxen             // 0000000052C8: E0502000 800532E9
	buffer_load_dword v51, v234, s[20:23], 0 idxen             // 0000000052D0: E0502000 800533EA
	s_waitcnt lgkmcnt(0)                                       // 0000000052D8: BF8CC07F
	s_barrier                                                  // 0000000052DC: BF8A0000
	ds_read_b128 a[80:83], v24                                 // 0000000052E0: DBFE0000 50000018
	ds_read_b128 a[84:87], v24 offset:512                      // 0000000052E8: DBFE0200 54000018
	s_add_u32 s60, 64, s59                                     // 0000000052F0: 803C3BC0
	s_cmp_lt_u32 s60, s58                                      // 0000000052F4: BF0A3A3C
	s_cselect_b32 s68, s68, 0                                  // 0000000052F8: 85448044
	s_cselect_b32 s81, s81, 0                                  // 0000000052FC: 85518051
	v_add_u32_e32 v1, s68, v1                                  // 000000005300: 68020244
	v_add_u32_e32 v2, s68, v2                                  // 000000005304: 68040444
	;; [unrolled: 1-line block ×3, first 2 shown]
	v_add_u32_e32 v4, s68, v4                                  // 00000000530C: 68080844
	v_add_u32_e32 v231, s81, v231                              // 000000005310: 69CFCE51
	v_add_u32_e32 v232, s81, v232                              // 000000005314: 69D1D051
	v_add_u32_e32 v233, s81, v233                              // 000000005318: 69D3D251
	v_add_u32_e32 v234, s81, v234                              // 00000000531C: 69D5D451
	s_waitcnt vmcnt(16) lgkmcnt(0)                             // 000000005320: BF8C4070
	s_barrier                                                  // 000000005324: BF8A0000
	s_cmp_lt_i32 2, s73                                        // 000000005328: BF044982
	s_cbranch_scc1 label_04D4                                  // 00000000532C: BF850008
	v_mov_b32_e32 v194, 0                                      // 000000005330: 7F840280
	v_mov_b32_e32 v195, 0                                      // 000000005334: 7F860280
	v_mov_b32_e32 v196, 0                                      // 000000005338: 7F880280
	v_mov_b32_e32 v197, 0                                      // 00000000533C: 7F8A0280
	v_mov_b32_e32 v198, 0                                      // 000000005340: 7F8C0280
	v_mov_b32_e32 v199, 0                                      // 000000005344: 7F8E0280
	v_mov_b32_e32 v200, 0                                      // 000000005348: 7F900280
	v_mov_b32_e32 v201, 0                                      // 00000000534C: 7F920280

0000000000005350 <label_04D4>:
	ds_write_b32 v13, v194                                     // 000000005350: D81A0000 0000C20D
	ds_write_b32 v13, v195 offset:1056                         // 000000005358: D81A0420 0000C30D
	ds_write_b32 v13, v196 offset:2176                         // 000000005360: D81A0880 0000C40D
	ds_write_b32 v13, v197 offset:3232                         // 000000005368: D81A0CA0 0000C50D
	ds_write_b32 v13, v198 offset:4352                         // 000000005370: D81A1100 0000C60D
	ds_write_b32 v13, v199 offset:5408                         // 000000005378: D81A1520 0000C70D
	ds_write_b32 v13, v200 offset:6528                         // 000000005380: D81A1980 0000C80D
	ds_write_b32 v13, v201 offset:7584                         // 000000005388: D81A1DA0 0000C90D
	s_waitcnt lgkmcnt(0)                                       // 000000005390: BF8CC07F
	s_barrier                                                  // 000000005394: BF8A0000
	ds_read_b128 a[88:91], v24                                 // 000000005398: DBFE0000 58000018
	ds_read_b128 a[92:95], v24 offset:512                      // 0000000053A0: DBFE0200 5C000018
	s_waitcnt vmcnt(8) lgkmcnt(0)                              // 0000000053A8: BF8C0078
	s_barrier                                                  // 0000000053AC: BF8A0000
	buffer_load_dword v11, s[24:27], 0 idxen lds               // 0000000053B0: E0512000 8006000B
	s_mov_b32 m0, s77                                          // 0000000053B8: BEFC004D
	v_add_u32_e32 v11, s69, v11                                // 0000000053BC: 68161645
	v_perm_b32 v100, v37, v36, s63                             // 0000000053C0: D1ED0064 00FE4925
	v_perm_b32 v101, v37, v36, s64                             // 0000000053C8: D1ED0065 01024925
	v_perm_b32 v102, v39, v38, s63                             // 0000000053D0: D1ED0066 00FE4D27
	v_perm_b32 v103, v39, v38, s64                             // 0000000053D8: D1ED0067 01024D27
	ds_write_b32 v15, v100 offset:4352                         // 0000000053E0: D81A1100 0000640F
	ds_write_b32 v15, v101 offset:5408                         // 0000000053E8: D81A1520 0000650F
	ds_write_b32 v15, v102 offset:6528                         // 0000000053F0: D81A1980 0000660F
	ds_write_b32 v15, v103 offset:7584                         // 0000000053F8: D81A1DA0 0000670F
	ds_write_b32 v13, v36                                      // 000000005400: D81A0000 0000240D
	ds_write_b32 v13, v37 offset:1056                          // 000000005408: D81A0420 0000250D
	ds_write_b32 v13, v38 offset:2176                          // 000000005410: D81A0880 0000260D
	ds_write_b32 v13, v39 offset:3232                          // 000000005418: D81A0CA0 0000270D
	buffer_load_dword v11, s[24:27], 0 idxen lds               // 000000005420: E0512000 8006000B
	s_add_u32 s60, 64, s59                                     // 000000005428: 803C3BC0
	s_cmp_lt_u32 s60, s58                                      // 00000000542C: BF0A3A3C
	s_cselect_b32 s69, s69, 0                                  // 000000005430: 85458045
	s_mov_b32 m0, s76                                          // 000000005434: BEFC004C
	v_add_u32_e32 v11, s69, v11                                // 000000005438: 68161645
	v_perm_b32 v104, v45, v44, s63                             // 00000000543C: D1ED0068 00FE592D
	v_perm_b32 v105, v45, v44, s64                             // 000000005444: D1ED0069 0102592D
	v_perm_b32 v106, v47, v46, s63                             // 00000000544C: D1ED006A 00FE5D2F
	v_perm_b32 v107, v47, v46, s64                             // 000000005454: D1ED006B 01025D2F
	ds_write_b32 v15, v104 offset:13056                        // 00000000545C: D81A3300 0000680F
	ds_write_b32 v15, v105 offset:14112                        // 000000005464: D81A3720 0000690F
	ds_write_b32 v15, v106 offset:15232                        // 00000000546C: D81A3B80 00006A0F
	ds_write_b32 v15, v107 offset:16288                        // 000000005474: D81A3FA0 00006B0F
	ds_write_b32 v13, v44 offset:8704                          // 00000000547C: D81A2200 00002C0D
	ds_write_b32 v13, v45 offset:9760                          // 000000005484: D81A2620 00002D0D
	ds_write_b32 v13, v46 offset:10880                         // 00000000548C: D81A2A80 00002E0D
	ds_write_b32 v13, v47 offset:11936                         // 000000005494: D81A2EA0 00002F0D
	s_waitcnt vmcnt(1) lgkmcnt(0)                              // 00000000549C: BF8C0071
	s_barrier                                                  // 0000000054A0: BF8A0000
	ds_read_b128 a[96:99], v12                                 // 0000000054A4: DBFE0000 6000000C
	ds_read_b128 a[100:103], v12 offset:512                    // 0000000054AC: DBFE0200 6400000C
	ds_read_b128 a[104:107], v12 offset:2176                   // 0000000054B4: DBFE0880 6800000C
	ds_read_b128 a[108:111], v12 offset:2688                   // 0000000054BC: DBFE0A80 6C00000C
	ds_read_b128 v[108:111], v12 offset:8704                   // 0000000054C4: D9FE2200 6C00000C
	ds_read_b128 v[112:115], v12 offset:9216                   // 0000000054CC: D9FE2400 7000000C
	ds_read_b128 v[116:119], v12 offset:10880                  // 0000000054D4: D9FE2A80 7400000C
	ds_read_b128 v[120:123], v12 offset:11392                  // 0000000054DC: D9FE2C80 7800000C
	ds_read_b32 v140, v23 offset:39424                         // 0000000054E4: D86C9A00 8C000017
	ds_read_b32 v144, v23 offset:39488                         // 0000000054EC: D86C9A40 90000017
	ds_read_b32 v176, v23 offset:39680                         // 0000000054F4: D86C9B00 B0000017
	ds_read_b32 v177, v23 offset:39744                         // 0000000054FC: D86C9B40 B1000017
	v_accvgpr_write_b32 a112, 0                                // 000000005504: D3D94070 18000080
	v_mov_b32_e32 v178, 0                                      // 00000000550C: 7F640280
	v_accvgpr_write_b32 a113, 0                                // 000000005510: D3D94071 18000080
	v_mov_b32_e32 v179, 0                                      // 000000005518: 7F660280
	v_accvgpr_write_b32 a114, 0                                // 00000000551C: D3D94072 18000080
	v_mov_b32_e32 v180, 0                                      // 000000005524: 7F680280
	v_accvgpr_write_b32 a115, 0                                // 000000005528: D3D94073 18000080
	v_mov_b32_e32 v181, 0                                      // 000000005530: 7F6A0280
	v_accvgpr_write_b32 a116, 0                                // 000000005534: D3D94074 18000080
	v_mov_b32_e32 v182, 0                                      // 00000000553C: 7F6C0280
	v_accvgpr_write_b32 a117, 0                                // 000000005540: D3D94075 18000080
	v_mov_b32_e32 v183, 0                                      // 000000005548: 7F6E0280
	v_accvgpr_write_b32 a118, 0                                // 00000000554C: D3D94076 18000080
	v_mov_b32_e32 v184, 0                                      // 000000005554: 7F700280
	v_accvgpr_write_b32 a119, 0                                // 000000005558: D3D94077 18000080
	v_mov_b32_e32 v185, 0                                      // 000000005560: 7F720280
	v_accvgpr_write_b32 a120, 0                                // 000000005564: D3D94078 18000080
	v_mov_b32_e32 v186, 0                                      // 00000000556C: 7F740280
	v_accvgpr_write_b32 a121, 0                                // 000000005570: D3D94079 18000080
	v_mov_b32_e32 v187, 0                                      // 000000005578: 7F760280
	v_accvgpr_write_b32 a122, 0                                // 00000000557C: D3D9407A 18000080
	v_mov_b32_e32 v188, 0                                      // 000000005584: 7F780280
	v_accvgpr_write_b32 a123, 0                                // 000000005588: D3D9407B 18000080
	v_mov_b32_e32 v189, 0                                      // 000000005590: 7F7A0280
	v_accvgpr_write_b32 a124, 0                                // 000000005594: D3D9407C 18000080
	v_mov_b32_e32 v190, 0                                      // 00000000559C: 7F7C0280
	v_accvgpr_write_b32 a125, 0                                // 0000000055A0: D3D9407D 18000080
	v_mov_b32_e32 v191, 0                                      // 0000000055A8: 7F7E0280
	v_accvgpr_write_b32 a126, 0                                // 0000000055AC: D3D9407E 18000080
	v_mov_b32_e32 v192, 0                                      // 0000000055B4: 7F800280
	v_accvgpr_write_b32 a127, 0                                // 0000000055B8: D3D9407F 18000080
	v_mov_b32_e32 v193, 0                                      // 0000000055C0: 7F820280
	v_accvgpr_write_b32 a128, 0                                // 0000000055C4: D3D94080 18000080
	v_mov_b32_e32 v194, 0                                      // 0000000055CC: 7F840280
	v_accvgpr_write_b32 a129, 0                                // 0000000055D0: D3D94081 18000080
	v_mov_b32_e32 v195, 0                                      // 0000000055D8: 7F860280
	v_accvgpr_write_b32 a130, 0                                // 0000000055DC: D3D94082 18000080
	v_mov_b32_e32 v196, 0                                      // 0000000055E4: 7F880280
	v_accvgpr_write_b32 a131, 0                                // 0000000055E8: D3D94083 18000080
	v_mov_b32_e32 v197, 0                                      // 0000000055F0: 7F8A0280
	v_accvgpr_write_b32 a132, 0                                // 0000000055F4: D3D94084 18000080
	v_mov_b32_e32 v198, 0                                      // 0000000055FC: 7F8C0280
	v_accvgpr_write_b32 a133, 0                                // 000000005600: D3D94085 18000080
	v_mov_b32_e32 v199, 0                                      // 000000005608: 7F8E0280
	v_accvgpr_write_b32 a134, 0                                // 00000000560C: D3D94086 18000080
	v_mov_b32_e32 v200, 0                                      // 000000005614: 7F900280
	v_accvgpr_write_b32 a135, 0                                // 000000005618: D3D94087 18000080
	v_mov_b32_e32 v201, 0                                      // 000000005620: 7F920280
	v_accvgpr_write_b32 a136, 0                                // 000000005624: D3D94088 18000080
	v_mov_b32_e32 v202, 0                                      // 00000000562C: 7F940280
	v_accvgpr_write_b32 a137, 0                                // 000000005630: D3D94089 18000080
	v_mov_b32_e32 v203, 0                                      // 000000005638: 7F960280
	v_accvgpr_write_b32 a138, 0                                // 00000000563C: D3D9408A 18000080
	v_mov_b32_e32 v204, 0                                      // 000000005644: 7F980280
	v_accvgpr_write_b32 a139, 0                                // 000000005648: D3D9408B 18000080
	v_mov_b32_e32 v205, 0                                      // 000000005650: 7F9A0280
	v_accvgpr_write_b32 a140, 0                                // 000000005654: D3D9408C 18000080
	v_mov_b32_e32 v206, 0                                      // 00000000565C: 7F9C0280
	v_accvgpr_write_b32 a141, 0                                // 000000005660: D3D9408D 18000080
	v_mov_b32_e32 v207, 0                                      // 000000005668: 7F9E0280
	v_accvgpr_write_b32 a142, 0                                // 00000000566C: D3D9408E 18000080
	v_mov_b32_e32 v208, 0                                      // 000000005674: 7FA00280
	v_accvgpr_write_b32 a143, 0                                // 000000005678: D3D9408F 18000080
	v_mov_b32_e32 v209, 0                                      // 000000005680: 7FA20280
	v_accvgpr_write_b32 a144, 0                                // 000000005684: D3D94090 18000080
	v_mov_b32_e32 v210, 0                                      // 00000000568C: 7FA40280
	v_accvgpr_write_b32 a145, 0                                // 000000005690: D3D94091 18000080
	v_mov_b32_e32 v211, 0                                      // 000000005698: 7FA60280
	v_accvgpr_write_b32 a146, 0                                // 00000000569C: D3D94092 18000080
	v_mov_b32_e32 v212, 0                                      // 0000000056A4: 7FA80280
	v_accvgpr_write_b32 a147, 0                                // 0000000056A8: D3D94093 18000080
	v_mov_b32_e32 v213, 0                                      // 0000000056B0: 7FAA0280
	v_accvgpr_write_b32 a148, 0                                // 0000000056B4: D3D94094 18000080
	v_mov_b32_e32 v214, 0                                      // 0000000056BC: 7FAC0280
	v_accvgpr_write_b32 a149, 0                                // 0000000056C0: D3D94095 18000080
	v_mov_b32_e32 v215, 0                                      // 0000000056C8: 7FAE0280
	v_accvgpr_write_b32 a150, 0                                // 0000000056CC: D3D94096 18000080
	v_mov_b32_e32 v216, 0                                      // 0000000056D4: 7FB00280
	v_accvgpr_write_b32 a151, 0                                // 0000000056D8: D3D94097 18000080
	v_mov_b32_e32 v217, 0                                      // 0000000056E0: 7FB20280
	v_accvgpr_write_b32 a152, 0                                // 0000000056E4: D3D94098 18000080
	v_mov_b32_e32 v218, 0                                      // 0000000056EC: 7FB40280
	v_accvgpr_write_b32 a153, 0                                // 0000000056F0: D3D94099 18000080
	v_mov_b32_e32 v219, 0                                      // 0000000056F8: 7FB60280
	v_accvgpr_write_b32 a154, 0                                // 0000000056FC: D3D9409A 18000080
	v_mov_b32_e32 v220, 0                                      // 000000005704: 7FB80280
	v_accvgpr_write_b32 a155, 0                                // 000000005708: D3D9409B 18000080
	v_mov_b32_e32 v221, 0                                      // 000000005710: 7FBA0280
	v_accvgpr_write_b32 a156, 0                                // 000000005714: D3D9409C 18000080
	v_mov_b32_e32 v222, 0                                      // 00000000571C: 7FBC0280
	v_accvgpr_write_b32 a157, 0                                // 000000005720: D3D9409D 18000080
	v_mov_b32_e32 v223, 0                                      // 000000005728: 7FBE0280
	v_accvgpr_write_b32 a158, 0                                // 00000000572C: D3D9409E 18000080
	v_mov_b32_e32 v224, 0                                      // 000000005734: 7FC00280
	v_accvgpr_write_b32 a159, 0                                // 000000005738: D3D9409F 18000080
	v_mov_b32_e32 v225, 0                                      // 000000005740: 7FC20280
	v_mov_b32_e32 v156, 0                                      // 000000005744: 7F380280
	v_mov_b32_e32 v157, 0                                      // 000000005748: 7F3A0280
	v_mov_b32_e32 v158, 0                                      // 00000000574C: 7F3C0280
	v_mov_b32_e32 v159, 0                                      // 000000005750: 7F3E0280
	v_mov_b32_e32 v160, 0                                      // 000000005754: 7F400280
	v_mov_b32_e32 v161, 0                                      // 000000005758: 7F420280
	v_mov_b32_e32 v162, 0                                      // 00000000575C: 7F440280
	v_mov_b32_e32 v163, 0                                      // 000000005760: 7F460280
	v_mov_b32_e32 v148, 0                                      // 000000005764: 7F280280
	v_mov_b32_e32 v149, 0                                      // 000000005768: 7F2A0280
	v_mov_b32_e32 v150, 0                                      // 00000000576C: 7F2C0280
	v_mov_b32_e32 v151, 0                                      // 000000005770: 7F2E0280
	v_mov_b32_e32 v152, 0                                      // 000000005774: 7F300280
	v_mov_b32_e32 v153, 0                                      // 000000005778: 7F320280
	v_mov_b32_e32 v154, 0                                      // 00000000577C: 7F340280
	v_mov_b32_e32 v155, 0                                      // 000000005780: 7F360280
	s_waitcnt lgkmcnt(0)                                       // 000000005784: BF8CC07F
	s_barrier                                                  // 000000005788: BF8A0000
	buffer_load_dword v36, v1, s[8:11], 0 idxen                // 00000000578C: E0502000 80022401
	buffer_load_dword v37, v2, s[8:11], 0 idxen                // 000000005794: E0502000 80022502
	buffer_load_dword v38, v3, s[8:11], 0 idxen                // 00000000579C: E0502000 80022603
	buffer_load_dword v39, v4, s[8:11], 0 idxen                // 0000000057A4: E0502000 80022704
	buffer_load_dword v44, v231, s[20:23], 0 idxen             // 0000000057AC: E0502000 80052CE7
	buffer_load_dword v45, v232, s[20:23], 0 idxen             // 0000000057B4: E0502000 80052DE8
	buffer_load_dword v46, v233, s[20:23], 0 idxen             // 0000000057BC: E0502000 80052EE9
	buffer_load_dword v47, v234, s[20:23], 0 idxen             // 0000000057C4: E0502000 80052FEA
	buffer_load_dword v11, s[24:27], 0 idxen lds               // 0000000057CC: E0512000 8006000B
	s_add_u32 s60, 0x60, s59                                   // 0000000057D4: 803C3BFF 00000060
	s_cmp_lt_u32 s60, s58                                      // 0000000057DC: BF0A3A3C
	s_cselect_b32 s68, s68, 0                                  // 0000000057E0: 85448044
	s_cselect_b32 s81, s81, 0                                  // 0000000057E4: 85518051
	s_cselect_b32 s69, s69, 0                                  // 0000000057E8: 85458045
	s_mov_b32 m0, s77                                          // 0000000057EC: BEFC004D
	v_add_u32_e32 v11, s69, v11                                // 0000000057F0: 68161645
	v_add_u32_e32 v1, s68, v1                                  // 0000000057F4: 68020244
	v_add_u32_e32 v2, s68, v2                                  // 0000000057F8: 68040444
	v_add_u32_e32 v3, s68, v3                                  // 0000000057FC: 68060644
	v_add_u32_e32 v4, s68, v4                                  // 000000005800: 68080844
	v_add_u32_e32 v231, s81, v231                              // 000000005804: 69CFCE51
	v_add_u32_e32 v232, s81, v232                              // 000000005808: 69D1D051
	v_add_u32_e32 v233, s81, v233                              // 00000000580C: 69D3D251
	v_add_u32_e32 v234, s81, v234                              // 000000005810: 69D5D451
	v_mul_f32_e32 v140, s48, v140                              // 000000005814: 0B191830
	v_mul_f32_e32 v144, s48, v144                              // 000000005818: 0B212030
	v_perm_b32 v100, v41, v40, s63                             // 00000000581C: D1ED0064 00FE5129
	v_perm_b32 v101, v41, v40, s64                             // 000000005824: D1ED0065 01025129
	v_perm_b32 v102, v43, v42, s63                             // 00000000582C: D1ED0066 00FE552B
	v_perm_b32 v103, v43, v42, s64                             // 000000005834: D1ED0067 0102552B
	v_perm_b32 v104, v49, v48, s63                             // 00000000583C: D1ED0068 00FE6131
	v_perm_b32 v105, v49, v48, s64                             // 000000005844: D1ED0069 01026131
	v_perm_b32 v106, v51, v50, s63                             // 00000000584C: D1ED006A 00FE6533
	v_perm_b32 v107, v51, v50, s64                             // 000000005854: D1ED006B 01026533
	v_mov_b32_dpp v143, v140 quad_perm:[3,3,3,3] row_mask:0xf bank_mask:0xf// 00000000585C: 7F1E02FA FF00FF8C
	v_mov_b32_dpp v142, v140 quad_perm:[2,2,2,2] row_mask:0xf bank_mask:0xf// 000000005864: 7F1C02FA FF00AA8C
	v_mov_b32_dpp v141, v140 quad_perm:[1,1,1,1] row_mask:0xf bank_mask:0xf// 00000000586C: 7F1A02FA FF00558C
	v_mov_b32_dpp v140, v140 quad_perm:[0,0,0,0] row_mask:0xf bank_mask:0xf// 000000005874: 7F1802FA FF00008C
	v_mov_b32_dpp v147, v144 quad_perm:[3,3,3,3] row_mask:0xf bank_mask:0xf// 00000000587C: 7F2602FA FF00FF90
	v_mov_b32_dpp v146, v144 quad_perm:[2,2,2,2] row_mask:0xf bank_mask:0xf// 000000005884: 7F2402FA FF00AA90
	v_mov_b32_dpp v145, v144 quad_perm:[1,1,1,1] row_mask:0xf bank_mask:0xf// 00000000588C: 7F2202FA FF005590
	v_mov_b32_dpp v144, v144 quad_perm:[0,0,0,0] row_mask:0xf bank_mask:0xf// 000000005894: 7F2002FA FF000090
	s_waitcnt vmcnt(9)                                         // 00000000589C: BF8C0F79
	s_barrier                                                  // 0000000058A0: BF8A0000
	s_cmp_lt_i32 s46, 2                                        // 0000000058A4: BF04822E
	s_cbranch_scc0 label_0F05                                  // 0000000058A8: BF8408C8
	s_nop 0                                                    // 0000000058AC: BF800000
	s_nop 0                                                    // 0000000058B0: BF800000

00000000000058b4 <label_062D>:
	s_waitcnt lgkmcnt(4)                                       // 0000000058B4: BF8CC47F
	s_barrier                                                  // 0000000058B8: BF8A0000
	v_mfma_f32_16x16x16_bf16 v[52:55], a[96:97], a[0:1], 0     // 0000000058BC: D3E10034 1A020160
	ds_write_b32 v13, v48 offset:8704                          // 0000000058C4: D81A2200 0000300D
	ds_write_b32 v13, v49 offset:9760                          // 0000000058CC: D81A2620 0000310D
	v_mfma_f32_16x16x16_bf16 v[52:55], a[98:99], a[2:3], v[52:55]// 0000000058D4: D3E10034 1CD20562
	v_mul_f32_e32 v148, s47, v148                              // 0000000058DC: 0B29282F
	v_mul_f32_e32 v149, s47, v149                              // 0000000058E0: 0B2B2A2F
	v_mfma_f32_16x16x16_bf16 v[52:55], a[100:101], a[4:5], v[52:55]// 0000000058E4: D3E10034 1CD20964
	ds_write_b32 v13, v50 offset:10880                         // 0000000058EC: D81A2A80 0000320D
	ds_write_b32 v13, v51 offset:11936                         // 0000000058F4: D81A2EA0 0000330D
	v_mfma_f32_16x16x16_bf16 v[52:55], a[102:103], a[6:7], v[52:55]// 0000000058FC: D3E10034 1CD20D66
	v_mul_f32_e32 v150, s47, v150                              // 000000005904: 0B2D2C2F
	v_mul_f32_e32 v151, s47, v151                              // 000000005908: 0B2F2E2F
	v_mfma_f32_16x16x16_bf16 v[56:59], a[96:97], a[8:9], 0     // 00000000590C: D3E10038 1A021160
	ds_write_b64 v22, v[148:149] offset:31232                  // 000000005914: D89A7A00 00009416
	v_mfma_f32_16x16x16_bf16 v[56:59], a[98:99], a[10:11], v[56:59]// 00000000591C: D3E10038 1CE21562
	v_mul_f32_e32 v152, s47, v152                              // 000000005924: 0B31302F
	v_mul_f32_e32 v153, s47, v153                              // 000000005928: 0B33322F
	v_mfma_f32_16x16x16_bf16 v[56:59], a[100:101], a[12:13], v[56:59]// 00000000592C: D3E10038 1CE21964
	ds_write_b64 v22, v[150:151] offset:31744                  // 000000005934: D89A7C00 00009616
	v_mfma_f32_16x16x16_bf16 v[56:59], a[102:103], a[14:15], v[56:59]// 00000000593C: D3E10038 1CE21D66
	v_mul_f32_e32 v154, s47, v154                              // 000000005944: 0B35342F
	v_mul_f32_e32 v155, s47, v155                              // 000000005948: 0B37362F
	v_mfma_f32_16x16x16_bf16 v[60:63], a[96:97], a[16:17], 0   // 00000000594C: D3E1003C 1A022160
	ds_write_b64 v22, v[152:153] offset:32256                  // 000000005954: D89A7E00 00009816
	v_mfma_f32_16x16x16_bf16 v[60:63], a[98:99], a[18:19], v[60:63]// 00000000595C: D3E1003C 1CF22562
	buffer_atomic_add_f32 v160, v8, s[32:35], 0 idxen          // 000000005964: E1342000 8008A008
	v_mfma_f32_16x16x16_bf16 v[60:63], a[100:101], a[20:21], v[60:63]// 00000000596C: D3E1003C 1CF22964
	ds_write_b64 v22, v[154:155] offset:32768                  // 000000005974: D89A8000 00009A16
	v_mfma_f32_16x16x16_bf16 v[60:63], a[102:103], a[22:23], v[60:63]// 00000000597C: D3E1003C 1CF22D66
	v_mfma_f32_16x16x16_bf16 v[64:67], a[104:105], a[0:1], 0   // 000000005984: D3E10040 1A020168
	ds_read_b128 v[124:127], v14 offset:13056                  // 00000000598C: D9FE3300 7C00000E
	ds_write_b32 v13, v40                                      // 000000005994: D81A0000 0000280D
	v_mfma_f32_16x16x16_bf16 v[64:67], a[106:107], a[2:3], v[64:67]// 00000000599C: D3E10040 1D02056A
	buffer_atomic_add_f32 v161, v9, s[32:35], 0 idxen          // 0000000059A4: E1342000 8008A109
	v_mfma_f32_16x16x16_bf16 v[64:67], a[108:109], a[4:5], v[64:67]// 0000000059AC: D3E10040 1D02096C
	v_mfma_f32_16x16x16_bf16 v[64:67], a[110:111], a[6:7], v[64:67]// 0000000059B4: D3E10040 1D020D6E
	ds_read_b128 v[128:131], v14 offset:13568                  // 0000000059BC: D9FE3500 8000000E
	ds_write_b32 v13, v41 offset:1056                          // 0000000059C4: D81A0420 0000290D
	v_mfma_f32_16x16x16_bf16 v[68:71], a[104:105], a[8:9], 0   // 0000000059CC: D3E10044 1A021168
	buffer_atomic_add_f32 v162, v8, s[32:35], 0 idxen offset:128// 0000000059D4: E1342080 8008A208
	v_mfma_f32_16x16x16_bf16 v[68:71], a[106:107], a[10:11], v[68:71]// 0000000059DC: D3E10044 1D12156A
	v_mfma_f32_16x16x16_bf16 v[68:71], a[108:109], a[12:13], v[68:71]// 0000000059E4: D3E10044 1D12196C
	ds_read_b128 v[132:135], v14 offset:15232                  // 0000000059EC: D9FE3B80 8400000E
	ds_write_b32 v13, v42 offset:2176                          // 0000000059F4: D81A0880 00002A0D
	v_mfma_f32_16x16x16_bf16 v[68:71], a[110:111], a[14:15], v[68:71]// 0000000059FC: D3E10044 1D121D6E
	v_mfma_f32_16x16x16_bf16 v[72:75], a[104:105], a[16:17], 0 // 000000005A04: D3E10048 1A022168
	buffer_atomic_add_f32 v163, v9, s[32:35], 0 idxen offset:128// 000000005A0C: E1342080 8008A309
	v_mfma_f32_16x16x16_bf16 v[72:75], a[106:107], a[18:19], v[72:75]// 000000005A14: D3E10048 1D22256A
	ds_read_b128 v[136:139], v14 offset:15744                  // 000000005A1C: D9FE3D80 8800000E
	ds_write_b32 v13, v43 offset:3232                          // 000000005A24: D81A0CA0 00002B0D
	v_mfma_f32_16x16x16_bf16 v[72:75], a[108:109], a[20:21], v[72:75]// 000000005A2C: D3E10048 1D22296C
	v_mfma_f32_16x16x16_bf16 v[72:75], a[110:111], a[22:23], v[72:75]// 000000005A34: D3E10048 1D222D6E
	s_cmp_lt_i32 s83, 0xc0                                     // 000000005A3C: BF04FF53 000000C0
	s_cbranch_scc0 label_0708                                  // 000000005A44: BF84006D
	s_cmp_le_i32 s83, 64                                       // 000000005A48: BF05C053
	s_cbranch_scc1 label_069B                                  // 000000005A4C: BF850007
	s_cmp_le_i32 s83, 0x80                                     // 000000005A50: BF05FF53 00000080
	s_cbranch_scc1 label_06BF                                  // 000000005A58: BF85001F
	s_cmp_lt_i32 s83, 0xc0                                     // 000000005A5C: BF04FF53 000000C0
	s_cbranch_scc1 label_06E3                                  // 000000005A64: BF850040
	s_branch label_0708                                        // 000000005A68: BF820064

0000000000005a6c <label_069B>:
	s_mov_b32 s60, 0                                           // 000000005A6C: BEBC0080
	v_and_b32_e32 v32, 15, v0                                  // 000000005A70: 2640008F
	v_add_u32_e64 v32, v32, s60                                // 000000005A74: D1340020 00007920
	v_mul_i32_i24_e64 v33, s46, 16                             // 000000005A7C: D1060021 0001202E
	v_add_u32_e32 v32, v32, v33                                // 000000005A84: 68404320
	v_cmp_lt_u32_e64 s[60:61], v32, s83                        // 000000005A88: D0C9003C 0000A720
	s_nop 1                                                    // 000000005A90: BF800001
	v_cndmask_b32_e64 v52, v230, v52, s[60:61]                 // 000000005A94: D1000034 00F269E6
	v_cndmask_b32_e64 v64, v230, v64, s[60:61]                 // 000000005A9C: D1000040 00F281E6
	v_cndmask_b32_e64 v53, v230, v53, s[60:61]                 // 000000005AA4: D1000035 00F26BE6
	v_cndmask_b32_e64 v65, v230, v65, s[60:61]                 // 000000005AAC: D1000041 00F283E6
	v_cndmask_b32_e64 v54, v230, v54, s[60:61]                 // 000000005AB4: D1000036 00F26DE6
	v_cndmask_b32_e64 v66, v230, v66, s[60:61]                 // 000000005ABC: D1000042 00F285E6
	v_cndmask_b32_e64 v55, v230, v55, s[60:61]                 // 000000005AC4: D1000037 00F26FE6
	v_cndmask_b32_e64 v67, v230, v67, s[60:61]                 // 000000005ACC: D1000043 00F287E6
	s_branch label_06DA                                        // 000000005AD4: BF82001B

0000000000005ad8 <label_06BF>:
	s_mov_b32 s60, 64                                          // 000000005AD8: BEBC00C0
	v_and_b32_e32 v32, 15, v0                                  // 000000005ADC: 2640008F
	v_add_u32_e64 v32, v32, s60                                // 000000005AE0: D1340020 00007920
	v_mul_i32_i24_e64 v33, s46, 16                             // 000000005AE8: D1060021 0001202E
	v_add_u32_e32 v32, v32, v33                                // 000000005AF0: 68404320
	v_cmp_lt_u32_e64 s[60:61], v32, s83                        // 000000005AF4: D0C9003C 0000A720
	s_nop 1                                                    // 000000005AFC: BF800001
	v_cndmask_b32_e64 v56, v230, v56, s[60:61]                 // 000000005B00: D1000038 00F271E6
	v_cndmask_b32_e64 v68, v230, v68, s[60:61]                 // 000000005B08: D1000044 00F289E6
	v_cndmask_b32_e64 v57, v230, v57, s[60:61]                 // 000000005B10: D1000039 00F273E6
	v_cndmask_b32_e64 v69, v230, v69, s[60:61]                 // 000000005B18: D1000045 00F28BE6
	v_cndmask_b32_e64 v58, v230, v58, s[60:61]                 // 000000005B20: D100003A 00F275E6
	v_cndmask_b32_e64 v70, v230, v70, s[60:61]                 // 000000005B28: D1000046 00F28DE6
	v_cndmask_b32_e64 v59, v230, v59, s[60:61]                 // 000000005B30: D100003B 00F277E6
	v_cndmask_b32_e64 v71, v230, v71, s[60:61]                 // 000000005B38: D1000047 00F28FE6
	s_branch label_06FF                                        // 000000005B40: BF820025

0000000000005b44 <label_06DA>:
	v_mov_b32_e32 v56, v230                                    // 000000005B44: 7E7003E6
	v_mov_b32_e32 v68, v230                                    // 000000005B48: 7E8803E6
	v_mov_b32_e32 v57, v230                                    // 000000005B4C: 7E7203E6
	v_mov_b32_e32 v69, v230                                    // 000000005B50: 7E8A03E6
	v_mov_b32_e32 v58, v230                                    // 000000005B54: 7E7403E6
	v_mov_b32_e32 v70, v230                                    // 000000005B58: 7E8C03E6
	v_mov_b32_e32 v59, v230                                    // 000000005B5C: 7E7603E6
	v_mov_b32_e32 v71, v230                                    // 000000005B60: 7E8E03E6
	s_branch label_06FF                                        // 000000005B64: BF82001C

0000000000005b68 <label_06E3>:
	s_mov_b32 s60, 0x80                                        // 000000005B68: BEBC00FF 00000080
	v_and_b32_e32 v32, 15, v0                                  // 000000005B70: 2640008F
	v_add_u32_e64 v32, v32, s60                                // 000000005B74: D1340020 00007920
	v_mul_i32_i24_e64 v33, s46, 16                             // 000000005B7C: D1060021 0001202E
	v_add_u32_e32 v32, v32, v33                                // 000000005B84: 68404320
	v_cmp_lt_u32_e64 s[60:61], v32, s83                        // 000000005B88: D0C9003C 0000A720
	s_nop 1                                                    // 000000005B90: BF800001
	v_cndmask_b32_e64 v60, v230, v60, s[60:61]                 // 000000005B94: D100003C 00F279E6
	v_cndmask_b32_e64 v72, v230, v72, s[60:61]                 // 000000005B9C: D1000048 00F291E6
	v_cndmask_b32_e64 v61, v230, v61, s[60:61]                 // 000000005BA4: D100003D 00F27BE6
	v_cndmask_b32_e64 v73, v230, v73, s[60:61]                 // 000000005BAC: D1000049 00F293E6
	v_cndmask_b32_e64 v62, v230, v62, s[60:61]                 // 000000005BB4: D100003E 00F27DE6
	v_cndmask_b32_e64 v74, v230, v74, s[60:61]                 // 000000005BBC: D100004A 00F295E6
	v_cndmask_b32_e64 v63, v230, v63, s[60:61]                 // 000000005BC4: D100003F 00F27FE6
	v_cndmask_b32_e64 v75, v230, v75, s[60:61]                 // 000000005BCC: D100004B 00F297E6
	s_branch label_0708                                        // 000000005BD4: BF820009

0000000000005bd8 <label_06FF>:
	v_mov_b32_e32 v60, v230                                    // 000000005BD8: 7E7803E6
	v_mov_b32_e32 v72, v230                                    // 000000005BDC: 7E9003E6
	v_mov_b32_e32 v61, v230                                    // 000000005BE0: 7E7A03E6
	v_mov_b32_e32 v73, v230                                    // 000000005BE4: 7E9203E6
	v_mov_b32_e32 v62, v230                                    // 000000005BE8: 7E7C03E6
	v_mov_b32_e32 v74, v230                                    // 000000005BEC: 7E9403E6
	v_mov_b32_e32 v63, v230                                    // 000000005BF0: 7E7E03E6
	v_mov_b32_e32 v75, v230                                    // 000000005BF4: 7E9603E6
	s_branch label_0708                                        // 000000005BF8: BF820000

0000000000005bfc <label_0708>:
	s_waitcnt lgkmcnt(8)                                       // 000000005BFC: BF8CC87F
	s_barrier                                                  // 000000005C00: BF8A0000
	v_mfma_f32_16x16x16_bf16 v[76:79], v[108:109], a[72:73], 0 // 000000005C04: D3E1004C 1202916C
	ds_read_b128 a[96:99], v14 offset:4352                     // 000000005C0C: DBFE1100 6000000E
	ds_read_b128 a[100:103], v14 offset:4864                   // 000000005C14: DBFE1300 6400000E
	v_mfma_f32_16x16x16_bf16 v[76:79], v[110:111], a[74:75], v[76:79]// 000000005C1C: D3E1004C 1532956E
	v_fma_f32 v52, v52, s57, -v140                             // 000000005C24: D1CB0034 86307334
	v_fma_f32 v53, v53, s57, -v141                             // 000000005C2C: D1CB0035 86347335
	v_fma_f32 v54, v54, s57, -v142                             // 000000005C34: D1CB0036 86387336
	v_fma_f32 v55, v55, s57, -v143                             // 000000005C3C: D1CB0037 863C7337
	v_fma_f32 v56, v56, s57, -v140                             // 000000005C44: D1CB0038 86307338
	v_fma_f32 v57, v57, s57, -v141                             // 000000005C4C: D1CB0039 86347339
	v_mfma_f32_16x16x16_bf16 v[76:79], v[112:113], a[76:77], v[76:79]// 000000005C54: D3E1004C 15329970
	v_fma_f32 v58, v58, s57, -v142                             // 000000005C5C: D1CB003A 8638733A
	v_fma_f32 v59, v59, s57, -v143                             // 000000005C64: D1CB003B 863C733B
	v_fma_f32 v60, v60, s57, -v140                             // 000000005C6C: D1CB003C 8630733C
	v_fma_f32 v61, v61, s57, -v141                             // 000000005C74: D1CB003D 8634733D
	v_fma_f32 v62, v62, s57, -v142                             // 000000005C7C: D1CB003E 8638733E
	v_fma_f32 v63, v63, s57, -v143                             // 000000005C84: D1CB003F 863C733F
	v_mfma_f32_16x16x16_bf16 v[76:79], v[114:115], a[78:79], v[76:79]// 000000005C8C: D3E1004C 15329D72
	v_fma_f32 v64, v64, s57, -v144                             // 000000005C94: D1CB0040 86407340
	v_fma_f32 v65, v65, s57, -v145                             // 000000005C9C: D1CB0041 86447341
	v_fma_f32 v66, v66, s57, -v146                             // 000000005CA4: D1CB0042 86487342
	v_fma_f32 v67, v67, s57, -v147                             // 000000005CAC: D1CB0043 864C7343
	v_fma_f32 v68, v68, s57, -v144                             // 000000005CB4: D1CB0044 86407344
	v_fma_f32 v69, v69, s57, -v145                             // 000000005CBC: D1CB0045 86447345
	v_mfma_f32_16x16x16_bf16 v[80:83], v[108:109], a[80:81], 0 // 000000005CC4: D3E10050 1202A16C
	ds_read_b128 a[104:107], v14 offset:6528                   // 000000005CCC: DBFE1980 6800000E
	ds_read_b128 a[108:111], v14 offset:7040                   // 000000005CD4: DBFE1B80 6C00000E
	v_mfma_f32_16x16x16_bf16 v[80:83], v[110:111], a[82:83], v[80:83]// 000000005CDC: D3E10050 1542A56E
	v_fma_f32 v70, v70, s57, -v146                             // 000000005CE4: D1CB0046 86487346
	v_fma_f32 v71, v71, s57, -v147                             // 000000005CEC: D1CB0047 864C7347
	v_fma_f32 v72, v72, s57, -v144                             // 000000005CF4: D1CB0048 86407348
	v_fma_f32 v73, v73, s57, -v145                             // 000000005CFC: D1CB0049 86447349
	v_fma_f32 v74, v74, s57, -v146                             // 000000005D04: D1CB004A 8648734A
	v_fma_f32 v75, v75, s57, -v147                             // 000000005D0C: D1CB004B 864C734B
	v_mfma_f32_16x16x16_bf16 v[80:83], v[112:113], a[84:85], v[80:83]// 000000005D14: D3E10050 1542A970
	v_exp_f32_e32 v52, v52                                     // 000000005D1C: 7E684134
	v_exp_f32_e32 v53, v53                                     // 000000005D20: 7E6A4135
	v_mfma_f32_16x16x16_bf16 v[80:83], v[114:115], a[86:87], v[80:83]// 000000005D24: D3E10050 1542AD72
	v_exp_f32_e32 v54, v54                                     // 000000005D2C: 7E6C4136
	v_exp_f32_e32 v55, v55                                     // 000000005D30: 7E6E4137
	v_mfma_f32_16x16x16_bf16 v[84:87], v[108:109], a[88:89], 0 // 000000005D34: D3E10054 1202B16C
	ds_read_b64 v[156:157], v21 offset:31232                   // 000000005D3C: D8EC7A00 9C000015
	ds_read_b64 v[158:159], v21 offset:33280                   // 000000005D44: D8EC8200 9E000015
	v_mfma_f32_16x16x16_bf16 v[84:87], v[110:111], a[90:91], v[84:87]// 000000005D4C: D3E10054 1552B56E
	v_exp_f32_e32 v56, v56                                     // 000000005D54: 7E704138
	v_exp_f32_e32 v57, v57                                     // 000000005D58: 7E724139
	v_mfma_f32_16x16x16_bf16 v[84:87], v[112:113], a[92:93], v[84:87]// 000000005D5C: D3E10054 1552B970
	ds_read_b64 v[160:161], v21 offset:35328                   // 000000005D64: D8EC8A00 A0000015
	ds_read_b64 v[162:163], v21 offset:37376                   // 000000005D6C: D8EC9200 A2000015
	v_mfma_f32_16x16x16_bf16 v[84:87], v[114:115], a[94:95], v[84:87]// 000000005D74: D3E10054 1552BD72
	v_exp_f32_e32 v58, v58                                     // 000000005D7C: 7E74413A
	v_exp_f32_e32 v59, v59                                     // 000000005D80: 7E76413B
	v_mfma_f32_16x16x16_bf16 v[88:91], v[116:117], a[72:73], 0 // 000000005D84: D3E10058 12029174
	v_exp_f32_e32 v60, v60                                     // 000000005D8C: 7E78413C
	v_exp_f32_e32 v61, v61                                     // 000000005D90: 7E7A413D
	v_mfma_f32_16x16x16_bf16 v[88:91], v[118:119], a[74:75], v[88:91]// 000000005D94: D3E10058 15629576
	v_exp_f32_e32 v62, v62                                     // 000000005D9C: 7E7C413E
	v_exp_f32_e32 v63, v63                                     // 000000005DA0: 7E7E413F
	v_mfma_f32_16x16x16_bf16 v[88:91], v[120:121], a[76:77], v[88:91]// 000000005DA4: D3E10058 15629978
	v_exp_f32_e32 v64, v64                                     // 000000005DAC: 7E804140
	v_exp_f32_e32 v65, v65                                     // 000000005DB0: 7E824141
	v_mfma_f32_16x16x16_bf16 v[88:91], v[122:123], a[78:79], v[88:91]// 000000005DB4: D3E10058 15629D7A
	v_exp_f32_e32 v66, v66                                     // 000000005DBC: 7E844142
	v_exp_f32_e32 v67, v67                                     // 000000005DC0: 7E864143
	v_mfma_f32_16x16x16_bf16 v[92:95], v[116:117], a[80:81], 0 // 000000005DC4: D3E1005C 1202A174
	v_exp_f32_e32 v68, v68                                     // 000000005DCC: 7E884144
	v_exp_f32_e32 v69, v69                                     // 000000005DD0: 7E8A4145
	v_mfma_f32_16x16x16_bf16 v[92:95], v[118:119], a[82:83], v[92:95]// 000000005DD4: D3E1005C 1572A576
	v_exp_f32_e32 v70, v70                                     // 000000005DDC: 7E8C4146
	v_exp_f32_e32 v71, v71                                     // 000000005DE0: 7E8E4147
	v_mfma_f32_16x16x16_bf16 v[92:95], v[120:121], a[84:85], v[92:95]// 000000005DE4: D3E1005C 1572A978
	v_exp_f32_e32 v72, v72                                     // 000000005DEC: 7E904148
	v_exp_f32_e32 v73, v73                                     // 000000005DF0: 7E924149
	v_mfma_f32_16x16x16_bf16 v[92:95], v[122:123], a[86:87], v[92:95]// 000000005DF4: D3E1005C 1572AD7A
	v_exp_f32_e32 v74, v74                                     // 000000005DFC: 7E94414A
	v_exp_f32_e32 v75, v75                                     // 000000005E00: 7E96414B
	v_mfma_f32_16x16x16_bf16 v[96:99], v[116:117], a[88:89], 0 // 000000005E04: D3E10060 1202B174
	v_cmp_u_f32_e64 s[74:75], v52, v52                         // 000000005E0C: D048004A 00026934
	v_add3_u32 v226, v52, v229, 1                              // 000000005E14: D1FF00E2 0207CB34
	v_cndmask_b32_e64 v32, v226, v228, s[74:75]                // 000000005E1C: D1000020 012BC9E2
	v_cmp_u_f32_e64 s[74:75], v53, v53                         // 000000005E24: D048004A 00026B35
	v_add3_u32 v226, v53, v229, 1                              // 000000005E2C: D1FF00E2 0207CB35
	v_cndmask_b32_e64 v33, v226, v228, s[74:75]                // 000000005E34: D1000021 012BC9E2
	v_perm_b32 v164, v33, v32, s64                             // 000000005E3C: D1ED00A4 01024121
	v_cmp_u_f32_e64 s[74:75], v54, v54                         // 000000005E44: D048004A 00026D36
	v_add3_u32 v226, v54, v229, 1                              // 000000005E4C: D1FF00E2 0207CB36
	v_cndmask_b32_e64 v32, v226, v228, s[74:75]                // 000000005E54: D1000020 012BC9E2
	v_cmp_u_f32_e64 s[74:75], v55, v55                         // 000000005E5C: D048004A 00026F37
	v_add3_u32 v226, v55, v229, 1                              // 000000005E64: D1FF00E2 0207CB37
	v_cndmask_b32_e64 v33, v226, v228, s[74:75]                // 000000005E6C: D1000021 012BC9E2
	v_perm_b32 v165, v33, v32, s64                             // 000000005E74: D1ED00A5 01024121
	v_cmp_u_f32_e64 s[74:75], v56, v56                         // 000000005E7C: D048004A 00027138
	v_add3_u32 v226, v56, v229, 1                              // 000000005E84: D1FF00E2 0207CB38
	v_cndmask_b32_e64 v32, v226, v228, s[74:75]                // 000000005E8C: D1000020 012BC9E2
	v_cmp_u_f32_e64 s[74:75], v57, v57                         // 000000005E94: D048004A 00027339
	v_add3_u32 v226, v57, v229, 1                              // 000000005E9C: D1FF00E2 0207CB39
	v_cndmask_b32_e64 v33, v226, v228, s[74:75]                // 000000005EA4: D1000021 012BC9E2
	v_perm_b32 v166, v33, v32, s64                             // 000000005EAC: D1ED00A6 01024121
	v_cmp_u_f32_e64 s[74:75], v58, v58                         // 000000005EB4: D048004A 0002753A
	v_add3_u32 v226, v58, v229, 1                              // 000000005EBC: D1FF00E2 0207CB3A
	v_cndmask_b32_e64 v32, v226, v228, s[74:75]                // 000000005EC4: D1000020 012BC9E2
	v_cmp_u_f32_e64 s[74:75], v59, v59                         // 000000005ECC: D048004A 0002773B
	v_add3_u32 v226, v59, v229, 1                              // 000000005ED4: D1FF00E2 0207CB3B
	v_cndmask_b32_e64 v33, v226, v228, s[74:75]                // 000000005EDC: D1000021 012BC9E2
	v_perm_b32 v167, v33, v32, s64                             // 000000005EE4: D1ED00A7 01024121
	v_cmp_u_f32_e64 s[74:75], v60, v60                         // 000000005EEC: D048004A 0002793C
	v_add3_u32 v226, v60, v229, 1                              // 000000005EF4: D1FF00E2 0207CB3C
	v_cndmask_b32_e64 v32, v226, v228, s[74:75]                // 000000005EFC: D1000020 012BC9E2
	v_cmp_u_f32_e64 s[74:75], v61, v61                         // 000000005F04: D048004A 00027B3D
	v_add3_u32 v226, v61, v229, 1                              // 000000005F0C: D1FF00E2 0207CB3D
	v_cndmask_b32_e64 v33, v226, v228, s[74:75]                // 000000005F14: D1000021 012BC9E2
	v_perm_b32 v168, v33, v32, s64                             // 000000005F1C: D1ED00A8 01024121
	v_cmp_u_f32_e64 s[74:75], v62, v62                         // 000000005F24: D048004A 00027D3E
	v_add3_u32 v226, v62, v229, 1                              // 000000005F2C: D1FF00E2 0207CB3E
	v_cndmask_b32_e64 v32, v226, v228, s[74:75]                // 000000005F34: D1000020 012BC9E2
	v_cmp_u_f32_e64 s[74:75], v63, v63                         // 000000005F3C: D048004A 00027F3F
	v_add3_u32 v226, v63, v229, 1                              // 000000005F44: D1FF00E2 0207CB3F
	v_cndmask_b32_e64 v33, v226, v228, s[74:75]                // 000000005F4C: D1000021 012BC9E2
	v_perm_b32 v169, v33, v32, s64                             // 000000005F54: D1ED00A9 01024121
	v_mfma_f32_16x16x16_bf16 v[96:99], v[118:119], a[90:91], v[96:99]// 000000005F5C: D3E10060 1582B576
	v_cmp_u_f32_e64 s[74:75], v64, v64                         // 000000005F64: D048004A 00028140
	v_add3_u32 v226, v64, v229, 1                              // 000000005F6C: D1FF00E2 0207CB40
	v_cndmask_b32_e64 v32, v226, v228, s[74:75]                // 000000005F74: D1000020 012BC9E2
	v_cmp_u_f32_e64 s[74:75], v65, v65                         // 000000005F7C: D048004A 00028341
	v_add3_u32 v226, v65, v229, 1                              // 000000005F84: D1FF00E2 0207CB41
	v_cndmask_b32_e64 v33, v226, v228, s[74:75]                // 000000005F8C: D1000021 012BC9E2
	v_perm_b32 v170, v33, v32, s64                             // 000000005F94: D1ED00AA 01024121
	v_cmp_u_f32_e64 s[74:75], v66, v66                         // 000000005F9C: D048004A 00028542
	v_add3_u32 v226, v66, v229, 1                              // 000000005FA4: D1FF00E2 0207CB42
	v_cndmask_b32_e64 v32, v226, v228, s[74:75]                // 000000005FAC: D1000020 012BC9E2
	v_cmp_u_f32_e64 s[74:75], v67, v67                         // 000000005FB4: D048004A 00028743
	v_add3_u32 v226, v67, v229, 1                              // 000000005FBC: D1FF00E2 0207CB43
	v_cndmask_b32_e64 v33, v226, v228, s[74:75]                // 000000005FC4: D1000021 012BC9E2
	v_perm_b32 v171, v33, v32, s64                             // 000000005FCC: D1ED00AB 01024121
	v_cmp_u_f32_e64 s[74:75], v68, v68                         // 000000005FD4: D048004A 00028944
	v_add3_u32 v226, v68, v229, 1                              // 000000005FDC: D1FF00E2 0207CB44
	v_cndmask_b32_e64 v32, v226, v228, s[74:75]                // 000000005FE4: D1000020 012BC9E2
	v_cmp_u_f32_e64 s[74:75], v69, v69                         // 000000005FEC: D048004A 00028B45
	v_add3_u32 v226, v69, v229, 1                              // 000000005FF4: D1FF00E2 0207CB45
	v_cndmask_b32_e64 v33, v226, v228, s[74:75]                // 000000005FFC: D1000021 012BC9E2
	v_perm_b32 v172, v33, v32, s64                             // 000000006004: D1ED00AC 01024121
	v_cmp_u_f32_e64 s[74:75], v70, v70                         // 00000000600C: D048004A 00028D46
	v_add3_u32 v226, v70, v229, 1                              // 000000006014: D1FF00E2 0207CB46
	v_cndmask_b32_e64 v32, v226, v228, s[74:75]                // 00000000601C: D1000020 012BC9E2
	v_cmp_u_f32_e64 s[74:75], v71, v71                         // 000000006024: D048004A 00028F47
	v_add3_u32 v226, v71, v229, 1                              // 00000000602C: D1FF00E2 0207CB47
	v_cndmask_b32_e64 v33, v226, v228, s[74:75]                // 000000006034: D1000021 012BC9E2
	v_perm_b32 v173, v33, v32, s64                             // 00000000603C: D1ED00AD 01024121
	v_cmp_u_f32_e64 s[74:75], v72, v72                         // 000000006044: D048004A 00029148
	v_add3_u32 v226, v72, v229, 1                              // 00000000604C: D1FF00E2 0207CB48
	v_cndmask_b32_e64 v32, v226, v228, s[74:75]                // 000000006054: D1000020 012BC9E2
	v_cmp_u_f32_e64 s[74:75], v73, v73                         // 00000000605C: D048004A 00029349
	v_add3_u32 v226, v73, v229, 1                              // 000000006064: D1FF00E2 0207CB49
	v_cndmask_b32_e64 v33, v226, v228, s[74:75]                // 00000000606C: D1000021 012BC9E2
	v_perm_b32 v174, v33, v32, s64                             // 000000006074: D1ED00AE 01024121
	v_cmp_u_f32_e64 s[74:75], v74, v74                         // 00000000607C: D048004A 0002954A
	v_add3_u32 v226, v74, v229, 1                              // 000000006084: D1FF00E2 0207CB4A
	v_cndmask_b32_e64 v32, v226, v228, s[74:75]                // 00000000608C: D1000020 012BC9E2
	v_cmp_u_f32_e64 s[74:75], v75, v75                         // 000000006094: D048004A 0002974B
	v_add3_u32 v226, v75, v229, 1                              // 00000000609C: D1FF00E2 0207CB4B
	v_cndmask_b32_e64 v33, v226, v228, s[74:75]                // 0000000060A4: D1000021 012BC9E2
	v_perm_b32 v175, v33, v32, s64                             // 0000000060AC: D1ED00AF 01024121
	v_mfma_f32_16x16x16_bf16 v[96:99], v[120:121], a[92:93], v[96:99]// 0000000060B4: D3E10060 1582B978
	v_add_u32_e32 v6, s66, v6                                  // 0000000060BC: 680C0C42
	v_add_u32_e32 v7, s66, v7                                  // 0000000060C0: 680E0E42
	v_add_u32_e32 v8, s66, v8                                  // 0000000060C4: 68101042
	v_add_u32_e32 v9, s66, v9                                  // 0000000060C8: 68121242
	v_mfma_f32_16x16x16_bf16 v[96:99], v[122:123], a[94:95], v[96:99]// 0000000060CC: D3E10060 1582BD7A
	s_waitcnt lgkmcnt(0)                                       // 0000000060D4: BF8CC07F
	s_barrier                                                  // 0000000060D8: BF8A0000
	v_mfma_f32_16x16x16_bf16 v[178:181], v[124:125], v[164:165], v[178:181]// 0000000060DC: D3E100B2 06CB497C
	v_subrev_f32_dpp v76, v176, v76 quad_perm:[0,0,0,0] row_mask:0xf bank_mask:0xf// 0000000060E4: 069898FA FF0000B0
	v_subrev_f32_dpp v77, v176, v77 quad_perm:[1,1,1,1] row_mask:0xf bank_mask:0xf// 0000000060EC: 069A9AFA FF0055B0
	v_subrev_f32_dpp v78, v176, v78 quad_perm:[2,2,2,2] row_mask:0xf bank_mask:0xf// 0000000060F4: 069C9CFA FF00AAB0
	v_subrev_f32_dpp v79, v176, v79 quad_perm:[3,3,3,3] row_mask:0xf bank_mask:0xf// 0000000060FC: 069E9EFA FF00FFB0
	v_subrev_f32_dpp v80, v176, v80 quad_perm:[0,0,0,0] row_mask:0xf bank_mask:0xf// 000000006104: 06A0A0FA FF0000B0
	v_subrev_f32_dpp v81, v176, v81 quad_perm:[1,1,1,1] row_mask:0xf bank_mask:0xf// 00000000610C: 06A2A2FA FF0055B0
	v_mfma_f32_16x16x16_bf16 v[182:185], v[126:127], v[164:165], v[182:185]// 000000006114: D3E100B6 06DB497E
	v_subrev_f32_dpp v82, v176, v82 quad_perm:[2,2,2,2] row_mask:0xf bank_mask:0xf// 00000000611C: 06A4A4FA FF00AAB0
	v_subrev_f32_dpp v83, v176, v83 quad_perm:[3,3,3,3] row_mask:0xf bank_mask:0xf// 000000006124: 06A6A6FA FF00FFB0
	v_subrev_f32_dpp v84, v176, v84 quad_perm:[0,0,0,0] row_mask:0xf bank_mask:0xf// 00000000612C: 06A8A8FA FF0000B0
	v_subrev_f32_dpp v85, v176, v85 quad_perm:[1,1,1,1] row_mask:0xf bank_mask:0xf// 000000006134: 06AAAAFA FF0055B0
	v_subrev_f32_dpp v86, v176, v86 quad_perm:[2,2,2,2] row_mask:0xf bank_mask:0xf// 00000000613C: 06ACACFA FF00AAB0
	v_subrev_f32_dpp v87, v176, v87 quad_perm:[3,3,3,3] row_mask:0xf bank_mask:0xf// 000000006144: 06AEAEFA FF00FFB0
	v_mfma_f32_16x16x16_bf16 v[186:189], v[128:129], v[164:165], v[186:189]// 00000000614C: D3E100BA 06EB4980
	v_mul_f32_e32 v76, v52, v76                                // 000000006154: 0A989934
	v_mul_f32_e32 v77, v53, v77                                // 000000006158: 0A9A9B35
	v_mul_f32_e32 v78, v54, v78                                // 00000000615C: 0A9C9D36
	v_mul_f32_e32 v79, v55, v79                                // 000000006160: 0A9E9F37
	v_mul_f32_e32 v80, v56, v80                                // 000000006164: 0AA0A138
	v_mul_f32_e32 v81, v57, v81                                // 000000006168: 0AA2A339
	v_mfma_f32_16x16x16_bf16 v[190:193], v[130:131], v[164:165], v[190:193]// 00000000616C: D3E100BE 06FB4982
	v_mul_f32_e32 v82, v58, v82                                // 000000006174: 0AA4A53A
	v_mul_f32_e32 v83, v59, v83                                // 000000006178: 0AA6A73B
	v_mul_f32_e32 v84, v60, v84                                // 00000000617C: 0AA8A93C
	v_mul_f32_e32 v85, v61, v85                                // 000000006180: 0AAAAB3D
	v_mul_f32_e32 v86, v62, v86                                // 000000006184: 0AACAD3E
	v_mul_f32_e32 v87, v63, v87                                // 000000006188: 0AAEAF3F
	v_mfma_f32_16x16x16_bf16 v[194:197], v[124:125], v[166:167], v[194:197]// 00000000618C: D3E100C2 070B4D7C
	v_cmp_u_f32_e64 s[74:75], v76, v76                         // 000000006194: D048004A 0002994C
	v_add3_u32 v226, v76, v229, 1                              // 00000000619C: D1FF00E2 0207CB4C
	v_cndmask_b32_e64 v32, v226, v228, s[74:75]                // 0000000061A4: D1000020 012BC9E2
	v_cmp_u_f32_e64 s[74:75], v77, v77                         // 0000000061AC: D048004A 00029B4D
	v_add3_u32 v226, v77, v229, 1                              // 0000000061B4: D1FF00E2 0207CB4D
	v_cndmask_b32_e64 v33, v226, v228, s[74:75]                // 0000000061BC: D1000021 012BC9E2
	v_perm_b32 v76, v33, v32, s64                              // 0000000061C4: D1ED004C 01024121
	v_cmp_u_f32_e64 s[74:75], v78, v78                         // 0000000061CC: D048004A 00029D4E
	v_add3_u32 v226, v78, v229, 1                              // 0000000061D4: D1FF00E2 0207CB4E
	v_cndmask_b32_e64 v32, v226, v228, s[74:75]                // 0000000061DC: D1000020 012BC9E2
	v_cmp_u_f32_e64 s[74:75], v79, v79                         // 0000000061E4: D048004A 00029F4F
	v_add3_u32 v226, v79, v229, 1                              // 0000000061EC: D1FF00E2 0207CB4F
	v_cndmask_b32_e64 v33, v226, v228, s[74:75]                // 0000000061F4: D1000021 012BC9E2
	v_perm_b32 v77, v33, v32, s64                              // 0000000061FC: D1ED004D 01024121
	v_cmp_u_f32_e64 s[74:75], v80, v80                         // 000000006204: D048004A 0002A150
	v_add3_u32 v226, v80, v229, 1                              // 00000000620C: D1FF00E2 0207CB50
	v_cndmask_b32_e64 v32, v226, v228, s[74:75]                // 000000006214: D1000020 012BC9E2
	v_cmp_u_f32_e64 s[74:75], v81, v81                         // 00000000621C: D048004A 0002A351
	v_add3_u32 v226, v81, v229, 1                              // 000000006224: D1FF00E2 0207CB51
	v_cndmask_b32_e64 v33, v226, v228, s[74:75]                // 00000000622C: D1000021 012BC9E2
	v_perm_b32 v78, v33, v32, s64                              // 000000006234: D1ED004E 01024121
	v_cmp_u_f32_e64 s[74:75], v82, v82                         // 00000000623C: D048004A 0002A552
	v_add3_u32 v226, v82, v229, 1                              // 000000006244: D1FF00E2 0207CB52
	v_cndmask_b32_e64 v32, v226, v228, s[74:75]                // 00000000624C: D1000020 012BC9E2
	v_cmp_u_f32_e64 s[74:75], v83, v83                         // 000000006254: D048004A 0002A753
	v_add3_u32 v226, v83, v229, 1                              // 00000000625C: D1FF00E2 0207CB53
	v_cndmask_b32_e64 v33, v226, v228, s[74:75]                // 000000006264: D1000021 012BC9E2
	v_perm_b32 v79, v33, v32, s64                              // 00000000626C: D1ED004F 01024121
	v_cmp_u_f32_e64 s[74:75], v84, v84                         // 000000006274: D048004A 0002A954
	v_add3_u32 v226, v84, v229, 1                              // 00000000627C: D1FF00E2 0207CB54
	v_cndmask_b32_e64 v32, v226, v228, s[74:75]                // 000000006284: D1000020 012BC9E2
	v_cmp_u_f32_e64 s[74:75], v85, v85                         // 00000000628C: D048004A 0002AB55
	v_add3_u32 v226, v85, v229, 1                              // 000000006294: D1FF00E2 0207CB55
	v_cndmask_b32_e64 v33, v226, v228, s[74:75]                // 00000000629C: D1000021 012BC9E2
	v_perm_b32 v80, v33, v32, s64                              // 0000000062A4: D1ED0050 01024121
	v_cmp_u_f32_e64 s[74:75], v86, v86                         // 0000000062AC: D048004A 0002AD56
	v_add3_u32 v226, v86, v229, 1                              // 0000000062B4: D1FF00E2 0207CB56
	v_cndmask_b32_e64 v32, v226, v228, s[74:75]                // 0000000062BC: D1000020 012BC9E2
	v_cmp_u_f32_e64 s[74:75], v87, v87                         // 0000000062C4: D048004A 0002AF57
	v_add3_u32 v226, v87, v229, 1                              // 0000000062CC: D1FF00E2 0207CB57
	v_cndmask_b32_e64 v33, v226, v228, s[74:75]                // 0000000062D4: D1000021 012BC9E2
	v_perm_b32 v81, v33, v32, s64                              // 0000000062DC: D1ED0051 01024121
	v_mfma_f32_16x16x16_bf16 v[198:201], v[126:127], v[166:167], v[198:201]// 0000000062E4: D3E100C6 071B4D7E
	v_mov_b32_dpp v18, v76 quad_perm:[1,0,3,2] row_mask:0xf bank_mask:0xf// 0000000062EC: 7E2402FA FF00B14C
	v_perm_b32 v52, v18, v76, v17                              // 0000000062F4: D1ED0034 04469912
	v_mov_b32_dpp v18, v77 quad_perm:[1,0,3,2] row_mask:0xf bank_mask:0xf// 0000000062FC: 7E2402FA FF00B14D
	v_perm_b32 v53, v18, v77, v17                              // 000000006304: D1ED0035 04469B12
	v_mov_b32_dpp v18, v78 quad_perm:[1,0,3,2] row_mask:0xf bank_mask:0xf// 00000000630C: 7E2402FA FF00B14E
	v_perm_b32 v54, v18, v78, v17                              // 000000006314: D1ED0036 04469D12
	v_mfma_f32_16x16x16_bf16 v[202:205], v[128:129], v[166:167], v[202:205]// 00000000631C: D3E100CA 072B4D80
	v_mov_b32_dpp v18, v79 quad_perm:[1,0,3,2] row_mask:0xf bank_mask:0xf// 000000006324: 7E2402FA FF00B14F
	v_perm_b32 v55, v18, v79, v17                              // 00000000632C: D1ED0037 04469F12
	v_mov_b32_dpp v18, v80 quad_perm:[1,0,3,2] row_mask:0xf bank_mask:0xf// 000000006334: 7E2402FA FF00B150
	v_perm_b32 v56, v18, v80, v17                              // 00000000633C: D1ED0038 0446A112
	v_mov_b32_dpp v18, v81 quad_perm:[1,0,3,2] row_mask:0xf bank_mask:0xf// 000000006344: 7E2402FA FF00B151
	v_perm_b32 v57, v18, v81, v17                              // 00000000634C: D1ED0039 0446A312
	v_mfma_f32_16x16x16_bf16 v[206:209], v[130:131], v[166:167], v[206:209]// 000000006354: D3E100CE 073B4D82
	ds_write_b32 v20, v52 offset:17408                         // 00000000635C: D81A4400 00003414
	ds_write_b32 v20, v53 offset:17952                         // 000000006364: D81A4620 00003514
	v_mfma_f32_16x16x16_bf16 v[210:213], v[124:125], v[168:169], v[210:213]// 00000000636C: D3E100D2 074B517C
	v_subrev_f32_dpp v88, v177, v88 quad_perm:[0,0,0,0] row_mask:0xf bank_mask:0xf// 000000006374: 06B0B0FA FF0000B1
	v_subrev_f32_dpp v89, v177, v89 quad_perm:[1,1,1,1] row_mask:0xf bank_mask:0xf// 00000000637C: 06B2B2FA FF0055B1
	v_subrev_f32_dpp v90, v177, v90 quad_perm:[2,2,2,2] row_mask:0xf bank_mask:0xf// 000000006384: 06B4B4FA FF00AAB1
	v_subrev_f32_dpp v91, v177, v91 quad_perm:[3,3,3,3] row_mask:0xf bank_mask:0xf// 00000000638C: 06B6B6FA FF00FFB1
	v_subrev_f32_dpp v92, v177, v92 quad_perm:[0,0,0,0] row_mask:0xf bank_mask:0xf// 000000006394: 06B8B8FA FF0000B1
	v_subrev_f32_dpp v93, v177, v93 quad_perm:[1,1,1,1] row_mask:0xf bank_mask:0xf// 00000000639C: 06BABAFA FF0055B1
	v_mfma_f32_16x16x16_bf16 v[214:217], v[126:127], v[168:169], v[214:217]// 0000000063A4: D3E100D6 075B517E
	ds_write_b32 v20, v54 offset:19712                         // 0000000063AC: D81A4D00 00003614
	ds_write_b32 v20, v55 offset:20256                         // 0000000063B4: D81A4F20 00003714
	v_mfma_f32_16x16x16_bf16 v[218:221], v[128:129], v[168:169], v[218:221]// 0000000063BC: D3E100DA 076B5180
	v_subrev_f32_dpp v94, v177, v94 quad_perm:[2,2,2,2] row_mask:0xf bank_mask:0xf// 0000000063C4: 06BCBCFA FF00AAB1
	v_subrev_f32_dpp v95, v177, v95 quad_perm:[3,3,3,3] row_mask:0xf bank_mask:0xf// 0000000063CC: 06BEBEFA FF00FFB1
	v_subrev_f32_dpp v96, v177, v96 quad_perm:[0,0,0,0] row_mask:0xf bank_mask:0xf// 0000000063D4: 06C0C0FA FF0000B1
	v_subrev_f32_dpp v97, v177, v97 quad_perm:[1,1,1,1] row_mask:0xf bank_mask:0xf// 0000000063DC: 06C2C2FA FF0055B1
	v_subrev_f32_dpp v98, v177, v98 quad_perm:[2,2,2,2] row_mask:0xf bank_mask:0xf// 0000000063E4: 06C4C4FA FF00AAB1
	v_subrev_f32_dpp v99, v177, v99 quad_perm:[3,3,3,3] row_mask:0xf bank_mask:0xf// 0000000063EC: 06C6C6FA FF00FFB1
	v_mfma_f32_16x16x16_bf16 v[222:225], v[130:131], v[168:169], v[222:225]// 0000000063F4: D3E100DE 077B5182
	ds_write_b32 v20, v56 offset:22016                         // 0000000063FC: D81A5600 00003814
	ds_write_b32 v20, v57 offset:22560                         // 000000006404: D81A5820 00003914
	v_mfma_f32_16x16x16_bf16 v[178:181], v[132:133], v[170:171], v[178:181]// 00000000640C: D3E100B2 06CB5584
	v_mul_f32_e32 v88, v64, v88                                // 000000006414: 0AB0B140
	v_mul_f32_e32 v89, v65, v89                                // 000000006418: 0AB2B341
	v_mul_f32_e32 v90, v66, v90                                // 00000000641C: 0AB4B542
	v_mul_f32_e32 v91, v67, v91                                // 000000006420: 0AB6B743
	v_mul_f32_e32 v92, v68, v92                                // 000000006424: 0AB8B944
	v_mul_f32_e32 v93, v69, v93                                // 000000006428: 0ABABB45
	v_mfma_f32_16x16x16_bf16 v[182:185], v[134:135], v[170:171], v[182:185]// 00000000642C: D3E100B6 06DB5586
	v_mul_f32_e32 v94, v70, v94                                // 000000006434: 0ABCBD46
	v_mul_f32_e32 v95, v71, v95                                // 000000006438: 0ABEBF47
	v_mul_f32_e32 v96, v72, v96                                // 00000000643C: 0AC0C148
	v_mul_f32_e32 v97, v73, v97                                // 000000006440: 0AC2C349
	v_mul_f32_e32 v98, v74, v98                                // 000000006444: 0AC4C54A
	v_mul_f32_e32 v99, v75, v99                                // 000000006448: 0AC6C74B
	v_mfma_f32_16x16x16_bf16 v[186:189], v[136:137], v[170:171], v[186:189]// 00000000644C: D3E100BA 06EB5588
	v_cmp_u_f32_e64 s[74:75], v88, v88                         // 000000006454: D048004A 0002B158
	v_add3_u32 v226, v88, v229, 1                              // 00000000645C: D1FF00E2 0207CB58
	v_cndmask_b32_e64 v32, v226, v228, s[74:75]                // 000000006464: D1000020 012BC9E2
	v_cmp_u_f32_e64 s[74:75], v89, v89                         // 00000000646C: D048004A 0002B359
	v_add3_u32 v226, v89, v229, 1                              // 000000006474: D1FF00E2 0207CB59
	v_cndmask_b32_e64 v33, v226, v228, s[74:75]                // 00000000647C: D1000021 012BC9E2
	v_perm_b32 v82, v33, v32, s64                              // 000000006484: D1ED0052 01024121
	v_cmp_u_f32_e64 s[74:75], v90, v90                         // 00000000648C: D048004A 0002B55A
	v_add3_u32 v226, v90, v229, 1                              // 000000006494: D1FF00E2 0207CB5A
	v_cndmask_b32_e64 v32, v226, v228, s[74:75]                // 00000000649C: D1000020 012BC9E2
	v_cmp_u_f32_e64 s[74:75], v91, v91                         // 0000000064A4: D048004A 0002B75B
	v_add3_u32 v226, v91, v229, 1                              // 0000000064AC: D1FF00E2 0207CB5B
	v_cndmask_b32_e64 v33, v226, v228, s[74:75]                // 0000000064B4: D1000021 012BC9E2
	v_perm_b32 v83, v33, v32, s64                              // 0000000064BC: D1ED0053 01024121
	v_cmp_u_f32_e64 s[74:75], v92, v92                         // 0000000064C4: D048004A 0002B95C
	v_add3_u32 v226, v92, v229, 1                              // 0000000064CC: D1FF00E2 0207CB5C
	v_cndmask_b32_e64 v32, v226, v228, s[74:75]                // 0000000064D4: D1000020 012BC9E2
	v_cmp_u_f32_e64 s[74:75], v93, v93                         // 0000000064DC: D048004A 0002BB5D
	v_add3_u32 v226, v93, v229, 1                              // 0000000064E4: D1FF00E2 0207CB5D
	v_cndmask_b32_e64 v33, v226, v228, s[74:75]                // 0000000064EC: D1000021 012BC9E2
	v_perm_b32 v84, v33, v32, s64                              // 0000000064F4: D1ED0054 01024121
	v_cmp_u_f32_e64 s[74:75], v94, v94                         // 0000000064FC: D048004A 0002BD5E
	v_add3_u32 v226, v94, v229, 1                              // 000000006504: D1FF00E2 0207CB5E
	v_cndmask_b32_e64 v32, v226, v228, s[74:75]                // 00000000650C: D1000020 012BC9E2
	v_cmp_u_f32_e64 s[74:75], v95, v95                         // 000000006514: D048004A 0002BF5F
	v_add3_u32 v226, v95, v229, 1                              // 00000000651C: D1FF00E2 0207CB5F
	v_cndmask_b32_e64 v33, v226, v228, s[74:75]                // 000000006524: D1000021 012BC9E2
	v_perm_b32 v85, v33, v32, s64                              // 00000000652C: D1ED0055 01024121
	v_cmp_u_f32_e64 s[74:75], v96, v96                         // 000000006534: D048004A 0002C160
	v_add3_u32 v226, v96, v229, 1                              // 00000000653C: D1FF00E2 0207CB60
	v_cndmask_b32_e64 v32, v226, v228, s[74:75]                // 000000006544: D1000020 012BC9E2
	v_cmp_u_f32_e64 s[74:75], v97, v97                         // 00000000654C: D048004A 0002C361
	v_add3_u32 v226, v97, v229, 1                              // 000000006554: D1FF00E2 0207CB61
	v_cndmask_b32_e64 v33, v226, v228, s[74:75]                // 00000000655C: D1000021 012BC9E2
	v_perm_b32 v86, v33, v32, s64                              // 000000006564: D1ED0056 01024121
	v_cmp_u_f32_e64 s[74:75], v98, v98                         // 00000000656C: D048004A 0002C562
	v_add3_u32 v226, v98, v229, 1                              // 000000006574: D1FF00E2 0207CB62
	v_cndmask_b32_e64 v32, v226, v228, s[74:75]                // 00000000657C: D1000020 012BC9E2
	v_cmp_u_f32_e64 s[74:75], v99, v99                         // 000000006584: D048004A 0002C763
	v_add3_u32 v226, v99, v229, 1                              // 00000000658C: D1FF00E2 0207CB63
	v_cndmask_b32_e64 v33, v226, v228, s[74:75]                // 000000006594: D1000021 012BC9E2
	v_perm_b32 v87, v33, v32, s64                              // 00000000659C: D1ED0057 01024121
	v_mfma_f32_16x16x16_bf16 v[190:193], v[138:139], v[170:171], v[190:193]// 0000000065A4: D3E100BE 06FB558A
	v_mov_b32_dpp v18, v82 quad_perm:[1,0,3,2] row_mask:0xf bank_mask:0xf// 0000000065AC: 7E2402FA FF00B152
	v_perm_b32 v58, v18, v82, v17                              // 0000000065B4: D1ED003A 0446A512
	v_mov_b32_dpp v18, v83 quad_perm:[1,0,3,2] row_mask:0xf bank_mask:0xf// 0000000065BC: 7E2402FA FF00B153
	v_perm_b32 v59, v18, v83, v17                              // 0000000065C4: D1ED003B 0446A712
	v_mov_b32_dpp v18, v84 quad_perm:[1,0,3,2] row_mask:0xf bank_mask:0xf// 0000000065CC: 7E2402FA FF00B154
	v_perm_b32 v60, v18, v84, v17                              // 0000000065D4: D1ED003C 0446A912
	v_mfma_f32_16x16x16_bf16 v[194:197], v[132:133], v[172:173], v[194:197]// 0000000065DC: D3E100C2 070B5984
	v_mov_b32_dpp v18, v85 quad_perm:[1,0,3,2] row_mask:0xf bank_mask:0xf// 0000000065E4: 7E2402FA FF00B155
	v_perm_b32 v61, v18, v85, v17                              // 0000000065EC: D1ED003D 0446AB12
	v_mov_b32_dpp v18, v86 quad_perm:[1,0,3,2] row_mask:0xf bank_mask:0xf// 0000000065F4: 7E2402FA FF00B156
	v_perm_b32 v62, v18, v86, v17                              // 0000000065FC: D1ED003E 0446AD12
	v_mov_b32_dpp v18, v87 quad_perm:[1,0,3,2] row_mask:0xf bank_mask:0xf// 000000006604: 7E2402FA FF00B157
	v_perm_b32 v63, v18, v87, v17                              // 00000000660C: D1ED003F 0446AF12
	v_mfma_f32_16x16x16_bf16 v[198:201], v[134:135], v[172:173], v[198:201]// 000000006614: D3E100C6 071B5986
	ds_write_b32 v20, v58 offset:24320                         // 00000000661C: D81A5F00 00003A14
	ds_write_b32 v20, v59 offset:24864                         // 000000006624: D81A6120 00003B14
	v_mfma_f32_16x16x16_bf16 v[202:205], v[136:137], v[172:173], v[202:205]// 00000000662C: D3E100CA 072B5988
	v_mfma_f32_16x16x16_bf16 v[206:209], v[138:139], v[172:173], v[206:209]// 000000006634: D3E100CE 073B598A
	ds_write_b32 v20, v60 offset:26624                         // 00000000663C: D81A6800 00003C14
	ds_write_b32 v20, v61 offset:27168                         // 000000006644: D81A6A20 00003D14
	ds_write_b32 v20, v62 offset:28928                         // 00000000664C: D81A7100 00003E14
	ds_write_b32 v20, v63 offset:29472                         // 000000006654: D81A7320 00003F14
	v_mfma_f32_16x16x16_bf16 v[210:213], v[132:133], v[174:175], v[210:213]// 00000000665C: D3E100D2 074B5D84
	v_mfma_f32_16x16x16_bf16 v[214:217], v[134:135], v[174:175], v[214:217]// 000000006664: D3E100D6 075B5D86
	ds_write_b32 v15, v100 offset:4352                         // 00000000666C: D81A1100 0000640F
	ds_write_b32 v15, v101 offset:5408                         // 000000006674: D81A1520 0000650F
	v_mfma_f32_16x16x16_bf16 v[218:221], v[136:137], v[174:175], v[218:221]// 00000000667C: D3E100DA 076B5D88
	s_nop 0                                                    // 000000006684: BF800000
	s_nop 0                                                    // 000000006688: BF800000
	s_nop 0                                                    // 00000000668C: BF800000
	v_mfma_f32_16x16x16_bf16 v[222:225], v[138:139], v[174:175], v[222:225]// 000000006690: D3E100DE 077B5D8A
	ds_write_b32 v15, v102 offset:6528                         // 000000006698: D81A1980 0000660F
	ds_write_b32 v15, v103 offset:7584                         // 0000000066A0: D81A1DA0 0000670F
	s_barrier                                                  // 0000000066A8: BF8A0000
	v_mfma_f32_16x16x16_bf16 a[112:115], a[96:97], v[76:77], a[112:115]// 0000000066AC: D3E18070 0DC29960
	buffer_atomic_add_f32 v156, v6, s[32:35], 0 idxen          // 0000000066B4: E1342000 80089C06
	v_mfma_f32_16x16x16_bf16 a[116:119], a[98:99], v[76:77], a[116:119]// 0000000066BC: D3E18074 0DD29962
	ds_read_b32 v140, v23 offset:39936                         // 0000000066C4: D86C9C00 8C000017
	ds_read_b32 v144, v23 offset:40000                         // 0000000066CC: D86C9C40 90000017
	ds_read_b32 v176, v23 offset:40192                         // 0000000066D4: D86C9D00 B0000017
	ds_read_b32 v177, v23 offset:40256                         // 0000000066DC: D86C9D40 B1000017
	v_mfma_f32_16x16x16_bf16 a[120:123], a[100:101], v[76:77], a[120:123]// 0000000066E4: D3E18078 0DE29964
	s_waitcnt lgkmcnt(8)                                       // 0000000066EC: BF8CC87F
	s_barrier                                                  // 0000000066F0: BF8A0000
	v_mfma_f32_16x16x16_bf16 a[124:127], a[102:103], v[76:77], a[124:127]// 0000000066F4: D3E1807C 0DF29966
	ds_read_b128 v[52:55], v19 offset:17408                    // 0000000066FC: D9FE4400 34000013
	v_mfma_f32_16x16x16_bf16 a[128:131], a[96:97], v[78:79], a[128:131]// 000000006704: D3E18080 0E029D60
	v_mfma_f32_16x16x16_bf16 a[132:135], a[98:99], v[78:79], a[132:135]// 00000000670C: D3E18084 0E129D62
	ds_read_b128 v[56:59], v19 offset:18560                    // 000000006714: D9FE4880 38000013
	v_mfma_f32_16x16x16_bf16 a[136:139], a[100:101], v[78:79], a[136:139]// 00000000671C: D3E18088 0E229D64
	buffer_atomic_add_f32 v157, v7, s[32:35], 0 idxen          // 000000006724: E1342000 80089D07
	v_mfma_f32_16x16x16_bf16 a[140:143], a[102:103], v[78:79], a[140:143]// 00000000672C: D3E1808C 0E329D66
	ds_read_b128 v[60:63], v19 offset:19712                    // 000000006734: D9FE4D00 3C000013
	v_mfma_f32_16x16x16_bf16 a[144:147], a[96:97], v[80:81], a[144:147]// 00000000673C: D3E18090 0E42A160
	v_mfma_f32_16x16x16_bf16 a[148:151], a[98:99], v[80:81], a[148:151]// 000000006744: D3E18094 0E52A162
	ds_read_b128 v[64:67], v19 offset:20864                    // 00000000674C: D9FE5180 40000013
	v_mfma_f32_16x16x16_bf16 a[152:155], a[100:101], v[80:81], a[152:155]// 000000006754: D3E18098 0E62A164
	v_mfma_f32_16x16x16_bf16 a[156:159], a[102:103], v[80:81], a[156:159]// 00000000675C: D3E1809C 0E72A166
	ds_read_b128 v[68:71], v19 offset:22016                    // 000000006764: D9FE5600 44000013
	v_mfma_f32_16x16x16_bf16 a[112:115], a[104:105], v[82:83], a[112:115]// 00000000676C: D3E18070 0DC2A568
	buffer_atomic_add_f32 v158, v6, s[32:35], 0 idxen offset:128// 000000006774: E1342080 80089E06
	v_mfma_f32_16x16x16_bf16 a[116:119], a[106:107], v[82:83], a[116:119]// 00000000677C: D3E18074 0DD2A56A
	ds_read_b128 v[72:75], v19 offset:23168                    // 000000006784: D9FE5A80 48000013
	v_mfma_f32_16x16x16_bf16 a[120:123], a[108:109], v[82:83], a[120:123]// 00000000678C: D3E18078 0DE2A56C
	v_mfma_f32_16x16x16_bf16 a[124:127], a[110:111], v[82:83], a[124:127]// 000000006794: D3E1807C 0DF2A56E
	ds_write_b32 v15, v104 offset:13056                        // 00000000679C: D81A3300 0000680F
	v_mfma_f32_16x16x16_bf16 a[128:131], a[104:105], v[84:85], a[128:131]// 0000000067A4: D3E18080 0E02A968
	v_mfma_f32_16x16x16_bf16 a[132:135], a[106:107], v[84:85], a[132:135]// 0000000067AC: D3E18084 0E12A96A
	ds_write_b32 v15, v105 offset:14112                        // 0000000067B4: D81A3720 0000690F
	v_mfma_f32_16x16x16_bf16 a[136:139], a[108:109], v[84:85], a[136:139]// 0000000067BC: D3E18088 0E22A96C
	buffer_atomic_add_f32 v159, v7, s[32:35], 0 idxen offset:128// 0000000067C4: E1342080 80089F07
	v_mfma_f32_16x16x16_bf16 a[140:143], a[110:111], v[84:85], a[140:143]// 0000000067CC: D3E1808C 0E32A96E
	ds_write_b32 v15, v106 offset:15232                        // 0000000067D4: D81A3B80 00006A0F
	v_mfma_f32_16x16x16_bf16 a[144:147], a[104:105], v[86:87], a[144:147]// 0000000067DC: D3E18090 0E42AD68
	v_mfma_f32_16x16x16_bf16 a[148:151], a[106:107], v[86:87], a[148:151]// 0000000067E4: D3E18094 0E52AD6A
	ds_write_b32 v15, v107 offset:16288                        // 0000000067EC: D81A3FA0 00006B0F
	v_mfma_f32_16x16x16_bf16 a[152:155], a[108:109], v[86:87], a[152:155]// 0000000067F4: D3E18098 0E62AD6C
	v_mfma_f32_16x16x16_bf16 a[156:159], a[110:111], v[86:87], a[156:159]// 0000000067FC: D3E1809C 0E72AD6E
	s_waitcnt vmcnt(8) lgkmcnt(4)                              // 000000006804: BF8C0478
	s_barrier                                                  // 000000006808: BF8A0000
	v_mfma_f32_16x16x16_bf16 v[148:151], v[52:53], a[24:25], 0 // 00000000680C: D3E10094 12023134
	v_mul_f32_e32 v140, s48, v140                              // 000000006814: 0B191830
	v_mul_f32_e32 v144, s48, v144                              // 000000006818: 0B212030
	s_nop 0                                                    // 00000000681C: BF800000
	v_mfma_f32_16x16x16_bf16 v[148:151], v[54:55], a[28:29], v[148:151]// 000000006820: D3E10094 16523936
	ds_read_b128 a[96:99], v12                                 // 000000006828: DBFE0000 6000000C
	buffer_load_dword v40, v1, s[8:11], 0 idxen                // 000000006830: E0502000 80022801
	v_mfma_f32_16x16x16_bf16 v[148:151], v[56:57], a[32:33], v[148:151]// 000000006838: D3E10094 16524138
	v_mfma_f32_16x16x16_bf16 v[148:151], v[58:59], a[36:37], v[148:151]// 000000006840: D3E10094 1652493A
	ds_read_b128 a[100:103], v12 offset:512                    // 000000006848: DBFE0200 6400000C
	buffer_load_dword v41, v2, s[8:11], 0 idxen                // 000000006850: E0502000 80022902
	v_mfma_f32_16x16x16_bf16 v[148:151], v[60:61], a[40:41], v[148:151]// 000000006858: D3E10094 1652513C
	v_perm_b32 v100, v37, v36, s63                             // 000000006860: D1ED0064 00FE4925
	v_perm_b32 v101, v37, v36, s64                             // 000000006868: D1ED0065 01024925
	v_mfma_f32_16x16x16_bf16 v[148:151], v[62:63], a[44:45], v[148:151]// 000000006870: D3E10094 1652593E
	ds_read_b128 a[104:107], v12 offset:2176                   // 000000006878: DBFE0880 6800000C
	buffer_load_dword v42, v3, s[8:11], 0 idxen                // 000000006880: E0502000 80022A03
	v_mfma_f32_16x16x16_bf16 v[148:151], v[64:65], a[48:49], v[148:151]// 000000006888: D3E10094 16526140
	v_perm_b32 v102, v39, v38, s63                             // 000000006890: D1ED0066 00FE4D27
	v_perm_b32 v103, v39, v38, s64                             // 000000006898: D1ED0067 01024D27
	v_mfma_f32_16x16x16_bf16 v[148:151], v[66:67], a[52:53], v[148:151]// 0000000068A0: D3E10094 16526942
	ds_read_b128 a[108:111], v12 offset:2688                   // 0000000068A8: DBFE0A80 6C00000C
	buffer_load_dword v43, v4, s[8:11], 0 idxen                // 0000000068B0: E0502000 80022B04
	v_mfma_f32_16x16x16_bf16 v[148:151], v[68:69], a[56:57], v[148:151]// 0000000068B8: D3E10094 16527144
	v_perm_b32 v104, v45, v44, s63                             // 0000000068C0: D1ED0068 00FE592D
	v_perm_b32 v105, v45, v44, s64                             // 0000000068C8: D1ED0069 0102592D
	v_mfma_f32_16x16x16_bf16 v[148:151], v[70:71], a[60:61], v[148:151]// 0000000068D0: D3E10094 16527946
	ds_read_b128 v[108:111], v12 offset:8704                   // 0000000068D8: D9FE2200 6C00000C
	buffer_load_dword v48, v231, s[20:23], 0 idxen             // 0000000068E0: E0502000 800530E7
	v_mfma_f32_16x16x16_bf16 v[148:151], v[72:73], a[64:65], v[148:151]// 0000000068E8: D3E10094 16528148
	v_perm_b32 v106, v47, v46, s63                             // 0000000068F0: D1ED006A 00FE5D2F
	v_perm_b32 v107, v47, v46, s64                             // 0000000068F8: D1ED006B 01025D2F
	v_mfma_f32_16x16x16_bf16 v[148:151], v[74:75], a[68:69], v[148:151]// 000000006900: D3E10094 1652894A
	ds_read_b128 v[112:115], v12 offset:9216                   // 000000006908: D9FE2400 7000000C
	buffer_load_dword v49, v232, s[20:23], 0 idxen             // 000000006910: E0502000 800531E8
	v_mfma_f32_16x16x16_bf16 v[152:155], v[52:53], a[26:27], 0 // 000000006918: D3E10098 12023534
	v_mov_b32_dpp v143, v140 quad_perm:[3,3,3,3] row_mask:0xf bank_mask:0xf// 000000006920: 7F1E02FA FF00FF8C
	v_mov_b32_dpp v142, v140 quad_perm:[2,2,2,2] row_mask:0xf bank_mask:0xf// 000000006928: 7F1C02FA FF00AA8C
	v_mov_b32_dpp v141, v140 quad_perm:[1,1,1,1] row_mask:0xf bank_mask:0xf// 000000006930: 7F1A02FA FF00558C
	v_mov_b32_dpp v140, v140 quad_perm:[0,0,0,0] row_mask:0xf bank_mask:0xf// 000000006938: 7F1802FA FF00008C
	v_mfma_f32_16x16x16_bf16 v[152:155], v[54:55], a[30:31], v[152:155]// 000000006940: D3E10098 16623D36
	ds_read_b128 v[116:119], v12 offset:10880                  // 000000006948: D9FE2A80 7400000C
	buffer_load_dword v50, v233, s[20:23], 0 idxen             // 000000006950: E0502000 800532E9
	v_mfma_f32_16x16x16_bf16 v[152:155], v[56:57], a[34:35], v[152:155]// 000000006958: D3E10098 16624538
	v_mov_b32_dpp v147, v144 quad_perm:[3,3,3,3] row_mask:0xf bank_mask:0xf// 000000006960: 7F2602FA FF00FF90
	v_mov_b32_dpp v146, v144 quad_perm:[2,2,2,2] row_mask:0xf bank_mask:0xf// 000000006968: 7F2402FA FF00AA90
	v_mov_b32_dpp v145, v144 quad_perm:[1,1,1,1] row_mask:0xf bank_mask:0xf// 000000006970: 7F2202FA FF005590
	v_mov_b32_dpp v144, v144 quad_perm:[0,0,0,0] row_mask:0xf bank_mask:0xf// 000000006978: 7F2002FA FF000090
	s_add_u32 s60, 0x80, s59                                   // 000000006980: 803C3BFF 00000080
	v_mfma_f32_16x16x16_bf16 v[152:155], v[58:59], a[38:39], v[152:155]// 000000006988: D3E10098 16624D3A
	ds_read_b128 v[120:123], v12 offset:11392                  // 000000006990: D9FE2C80 7800000C
	buffer_load_dword v51, v234, s[20:23], 0 idxen             // 000000006998: E0502000 800533EA
	v_mfma_f32_16x16x16_bf16 v[152:155], v[60:61], a[42:43], v[152:155]// 0000000069A0: D3E10098 1662553C
	s_cmp_lt_u32 s60, s58                                      // 0000000069A8: BF0A3A3C
	s_cselect_b32 s68, s68, 0                                  // 0000000069AC: 85448044
	s_cselect_b32 s81, s81, 0                                  // 0000000069B0: 85518051
	s_cselect_b32 s69, s69, 0                                  // 0000000069B4: 85458045
	v_mfma_f32_16x16x16_bf16 v[152:155], v[62:63], a[46:47], v[152:155]// 0000000069B8: D3E10098 16625D3E
	buffer_load_dword v11, s[24:27], 0 idxen lds               // 0000000069C0: E0512000 8006000B
	v_mfma_f32_16x16x16_bf16 v[152:155], v[64:65], a[50:51], v[152:155]// 0000000069C8: D3E10098 16626540
	v_add_u32_e32 v1, s68, v1                                  // 0000000069D0: 68020244
	v_add_u32_e32 v2, s68, v2                                  // 0000000069D4: 68040444
	v_add_u32_e32 v3, s68, v3                                  // 0000000069D8: 68060644
	v_add_u32_e32 v4, s68, v4                                  // 0000000069DC: 68080844
	v_mfma_f32_16x16x16_bf16 v[152:155], v[66:67], a[54:55], v[152:155]// 0000000069E0: D3E10098 16626D42
	v_add_u32_e32 v231, s81, v231                              // 0000000069E8: 69CFCE51
	v_add_u32_e32 v232, s81, v232                              // 0000000069EC: 69D1D051
	v_add_u32_e32 v233, s81, v233                              // 0000000069F0: 69D3D251
	v_add_u32_e32 v234, s81, v234                              // 0000000069F4: 69D5D451
	v_mfma_f32_16x16x16_bf16 v[152:155], v[68:69], a[58:59], v[152:155]// 0000000069F8: D3E10098 16627544
	s_mov_b32 m0, s76                                          // 000000006A00: BEFC004C
	v_add_u32_e32 v11, s69, v11                                // 000000006A04: 68161645
	v_mfma_f32_16x16x16_bf16 v[152:155], v[70:71], a[62:63], v[152:155]// 000000006A08: D3E10098 16627D46
	s_cmp_ge_u32 s59, 32                                       // 000000006A10: BF09A03B
	s_cselect_b32 s66, s67, s66                                // 000000006A14: 85424243
	v_mfma_f32_16x16x16_bf16 v[152:155], v[72:73], a[66:67], v[152:155]// 000000006A18: D3E10098 16628548
	s_addk_i32 s59, 0x20                                       // 000000006A20: B73B0020
	s_nop 0                                                    // 000000006A24: BF800000
	s_cmp_lt_i32 s59, s58                                      // 000000006A28: BF043A3B
	v_mfma_f32_16x16x16_bf16 v[152:155], v[74:75], a[70:71], v[152:155]// 000000006A2C: D3E10098 16628D4A
	s_cbranch_scc0 label_0F02                                  // 000000006A34: BF840462
	s_waitcnt lgkmcnt(4)                                       // 000000006A38: BF8CC47F
	s_barrier                                                  // 000000006A3C: BF8A0000
	v_mfma_f32_16x16x16_bf16 v[52:55], a[96:97], a[0:1], 0     // 000000006A40: D3E10034 1A020160
	ds_write_b32 v13, v44 offset:8704                          // 000000006A48: D81A2200 00002C0D
	ds_write_b32 v13, v45 offset:9760                          // 000000006A50: D81A2620 00002D0D
	v_mfma_f32_16x16x16_bf16 v[52:55], a[98:99], a[2:3], v[52:55]// 000000006A58: D3E10034 1CD20562
	v_mul_f32_e32 v148, s47, v148                              // 000000006A60: 0B29282F
	v_mul_f32_e32 v149, s47, v149                              // 000000006A64: 0B2B2A2F
	v_mfma_f32_16x16x16_bf16 v[52:55], a[100:101], a[4:5], v[52:55]// 000000006A68: D3E10034 1CD20964
	ds_write_b32 v13, v46 offset:10880                         // 000000006A70: D81A2A80 00002E0D
	ds_write_b32 v13, v47 offset:11936                         // 000000006A78: D81A2EA0 00002F0D
	v_mfma_f32_16x16x16_bf16 v[52:55], a[102:103], a[6:7], v[52:55]// 000000006A80: D3E10034 1CD20D66
	v_mul_f32_e32 v150, s47, v150                              // 000000006A88: 0B2D2C2F
	v_mul_f32_e32 v151, s47, v151                              // 000000006A8C: 0B2F2E2F
	v_mfma_f32_16x16x16_bf16 v[56:59], a[96:97], a[8:9], 0     // 000000006A90: D3E10038 1A021160
	ds_write_b64 v22, v[148:149] offset:31232                  // 000000006A98: D89A7A00 00009416
	v_mfma_f32_16x16x16_bf16 v[56:59], a[98:99], a[10:11], v[56:59]// 000000006AA0: D3E10038 1CE21562
	v_mul_f32_e32 v152, s47, v152                              // 000000006AA8: 0B31302F
	v_mul_f32_e32 v153, s47, v153                              // 000000006AAC: 0B33322F
	v_mfma_f32_16x16x16_bf16 v[56:59], a[100:101], a[12:13], v[56:59]// 000000006AB0: D3E10038 1CE21964
	ds_write_b64 v22, v[150:151] offset:31744                  // 000000006AB8: D89A7C00 00009616
	v_mfma_f32_16x16x16_bf16 v[56:59], a[102:103], a[14:15], v[56:59]// 000000006AC0: D3E10038 1CE21D66
	v_mul_f32_e32 v154, s47, v154                              // 000000006AC8: 0B35342F
	v_mul_f32_e32 v155, s47, v155                              // 000000006ACC: 0B37362F
	v_mfma_f32_16x16x16_bf16 v[60:63], a[96:97], a[16:17], 0   // 000000006AD0: D3E1003C 1A022160
	ds_write_b64 v22, v[152:153] offset:32256                  // 000000006AD8: D89A7E00 00009816
	v_mfma_f32_16x16x16_bf16 v[60:63], a[98:99], a[18:19], v[60:63]// 000000006AE0: D3E1003C 1CF22562
	buffer_atomic_add_f32 v160, v8, s[32:35], 0 idxen          // 000000006AE8: E1342000 8008A008
	v_mfma_f32_16x16x16_bf16 v[60:63], a[100:101], a[20:21], v[60:63]// 000000006AF0: D3E1003C 1CF22964
	ds_write_b64 v22, v[154:155] offset:32768                  // 000000006AF8: D89A8000 00009A16
	v_mfma_f32_16x16x16_bf16 v[60:63], a[102:103], a[22:23], v[60:63]// 000000006B00: D3E1003C 1CF22D66
	v_mfma_f32_16x16x16_bf16 v[64:67], a[104:105], a[0:1], 0   // 000000006B08: D3E10040 1A020168
	ds_read_b128 v[124:127], v14 offset:13056                  // 000000006B10: D9FE3300 7C00000E
	ds_write_b32 v13, v36                                      // 000000006B18: D81A0000 0000240D
	v_mfma_f32_16x16x16_bf16 v[64:67], a[106:107], a[2:3], v[64:67]// 000000006B20: D3E10040 1D02056A
	buffer_atomic_add_f32 v161, v9, s[32:35], 0 idxen          // 000000006B28: E1342000 8008A109
	v_mfma_f32_16x16x16_bf16 v[64:67], a[108:109], a[4:5], v[64:67]// 000000006B30: D3E10040 1D02096C
	v_mfma_f32_16x16x16_bf16 v[64:67], a[110:111], a[6:7], v[64:67]// 000000006B38: D3E10040 1D020D6E
	ds_read_b128 v[128:131], v14 offset:13568                  // 000000006B40: D9FE3500 8000000E
	ds_write_b32 v13, v37 offset:1056                          // 000000006B48: D81A0420 0000250D
	v_mfma_f32_16x16x16_bf16 v[68:71], a[104:105], a[8:9], 0   // 000000006B50: D3E10044 1A021168
	buffer_atomic_add_f32 v162, v8, s[32:35], 0 idxen offset:128// 000000006B58: E1342080 8008A208
	v_mfma_f32_16x16x16_bf16 v[68:71], a[106:107], a[10:11], v[68:71]// 000000006B60: D3E10044 1D12156A
	v_mfma_f32_16x16x16_bf16 v[68:71], a[108:109], a[12:13], v[68:71]// 000000006B68: D3E10044 1D12196C
	ds_read_b128 v[132:135], v14 offset:15232                  // 000000006B70: D9FE3B80 8400000E
	ds_write_b32 v13, v38 offset:2176                          // 000000006B78: D81A0880 0000260D
	v_mfma_f32_16x16x16_bf16 v[68:71], a[110:111], a[14:15], v[68:71]// 000000006B80: D3E10044 1D121D6E
	v_mfma_f32_16x16x16_bf16 v[72:75], a[104:105], a[16:17], 0 // 000000006B88: D3E10048 1A022168
	buffer_atomic_add_f32 v163, v9, s[32:35], 0 idxen offset:128// 000000006B90: E1342080 8008A309
	v_mfma_f32_16x16x16_bf16 v[72:75], a[106:107], a[18:19], v[72:75]// 000000006B98: D3E10048 1D22256A
	ds_read_b128 v[136:139], v14 offset:15744                  // 000000006BA0: D9FE3D80 8800000E
	ds_write_b32 v13, v39 offset:3232                          // 000000006BA8: D81A0CA0 0000270D
	v_mfma_f32_16x16x16_bf16 v[72:75], a[108:109], a[20:21], v[72:75]// 000000006BB0: D3E10048 1D22296C
	v_mfma_f32_16x16x16_bf16 v[72:75], a[110:111], a[22:23], v[72:75]// 000000006BB8: D3E10048 1D222D6E
	s_cmp_lt_i32 s83, 0xc0                                     // 000000006BC0: BF04FF53 000000C0
	s_cbranch_scc0 label_0B72                                  // 000000006BC8: BF84006D
	s_cmp_le_i32 s83, 64                                       // 000000006BCC: BF05C053
	s_cbranch_scc1 label_0B05                                  // 000000006BD0: BF850007
	s_cmp_le_i32 s83, 0x80                                     // 000000006BD4: BF05FF53 00000080
	s_cbranch_scc1 label_0B29                                  // 000000006BDC: BF85001F
	s_cmp_lt_i32 s83, 0xc0                                     // 000000006BE0: BF04FF53 000000C0
	s_cbranch_scc1 label_0B4D                                  // 000000006BE8: BF850040
	s_branch label_0B72                                        // 000000006BEC: BF820064

0000000000006bf0 <label_0B05>:
	s_mov_b32 s60, 0                                           // 000000006BF0: BEBC0080
	v_and_b32_e32 v32, 15, v0                                  // 000000006BF4: 2640008F
	v_add_u32_e64 v32, v32, s60                                // 000000006BF8: D1340020 00007920
	v_mul_i32_i24_e64 v33, s46, 16                             // 000000006C00: D1060021 0001202E
	v_add_u32_e32 v32, v32, v33                                // 000000006C08: 68404320
	v_cmp_lt_u32_e64 s[60:61], v32, s83                        // 000000006C0C: D0C9003C 0000A720
	s_nop 1                                                    // 000000006C14: BF800001
	v_cndmask_b32_e64 v52, v230, v52, s[60:61]                 // 000000006C18: D1000034 00F269E6
	v_cndmask_b32_e64 v64, v230, v64, s[60:61]                 // 000000006C20: D1000040 00F281E6
	v_cndmask_b32_e64 v53, v230, v53, s[60:61]                 // 000000006C28: D1000035 00F26BE6
	v_cndmask_b32_e64 v65, v230, v65, s[60:61]                 // 000000006C30: D1000041 00F283E6
	v_cndmask_b32_e64 v54, v230, v54, s[60:61]                 // 000000006C38: D1000036 00F26DE6
	v_cndmask_b32_e64 v66, v230, v66, s[60:61]                 // 000000006C40: D1000042 00F285E6
	v_cndmask_b32_e64 v55, v230, v55, s[60:61]                 // 000000006C48: D1000037 00F26FE6
	v_cndmask_b32_e64 v67, v230, v67, s[60:61]                 // 000000006C50: D1000043 00F287E6
	s_branch label_0B44                                        // 000000006C58: BF82001B

0000000000006c5c <label_0B29>:
	s_mov_b32 s60, 64                                          // 000000006C5C: BEBC00C0
	v_and_b32_e32 v32, 15, v0                                  // 000000006C60: 2640008F
	v_add_u32_e64 v32, v32, s60                                // 000000006C64: D1340020 00007920
	v_mul_i32_i24_e64 v33, s46, 16                             // 000000006C6C: D1060021 0001202E
	v_add_u32_e32 v32, v32, v33                                // 000000006C74: 68404320
	v_cmp_lt_u32_e64 s[60:61], v32, s83                        // 000000006C78: D0C9003C 0000A720
	s_nop 1                                                    // 000000006C80: BF800001
	v_cndmask_b32_e64 v56, v230, v56, s[60:61]                 // 000000006C84: D1000038 00F271E6
	v_cndmask_b32_e64 v68, v230, v68, s[60:61]                 // 000000006C8C: D1000044 00F289E6
	v_cndmask_b32_e64 v57, v230, v57, s[60:61]                 // 000000006C94: D1000039 00F273E6
	v_cndmask_b32_e64 v69, v230, v69, s[60:61]                 // 000000006C9C: D1000045 00F28BE6
	v_cndmask_b32_e64 v58, v230, v58, s[60:61]                 // 000000006CA4: D100003A 00F275E6
	v_cndmask_b32_e64 v70, v230, v70, s[60:61]                 // 000000006CAC: D1000046 00F28DE6
	v_cndmask_b32_e64 v59, v230, v59, s[60:61]                 // 000000006CB4: D100003B 00F277E6
	v_cndmask_b32_e64 v71, v230, v71, s[60:61]                 // 000000006CBC: D1000047 00F28FE6
	s_branch label_0B69                                        // 000000006CC4: BF820025

0000000000006cc8 <label_0B44>:
	v_mov_b32_e32 v56, v230                                    // 000000006CC8: 7E7003E6
	v_mov_b32_e32 v68, v230                                    // 000000006CCC: 7E8803E6
	v_mov_b32_e32 v57, v230                                    // 000000006CD0: 7E7203E6
	v_mov_b32_e32 v69, v230                                    // 000000006CD4: 7E8A03E6
	v_mov_b32_e32 v58, v230                                    // 000000006CD8: 7E7403E6
	v_mov_b32_e32 v70, v230                                    // 000000006CDC: 7E8C03E6
	v_mov_b32_e32 v59, v230                                    // 000000006CE0: 7E7603E6
	v_mov_b32_e32 v71, v230                                    // 000000006CE4: 7E8E03E6
	s_branch label_0B69                                        // 000000006CE8: BF82001C

0000000000006cec <label_0B4D>:
	s_mov_b32 s60, 0x80                                        // 000000006CEC: BEBC00FF 00000080
	v_and_b32_e32 v32, 15, v0                                  // 000000006CF4: 2640008F
	v_add_u32_e64 v32, v32, s60                                // 000000006CF8: D1340020 00007920
	v_mul_i32_i24_e64 v33, s46, 16                             // 000000006D00: D1060021 0001202E
	v_add_u32_e32 v32, v32, v33                                // 000000006D08: 68404320
	v_cmp_lt_u32_e64 s[60:61], v32, s83                        // 000000006D0C: D0C9003C 0000A720
	s_nop 1                                                    // 000000006D14: BF800001
	v_cndmask_b32_e64 v60, v230, v60, s[60:61]                 // 000000006D18: D100003C 00F279E6
	v_cndmask_b32_e64 v72, v230, v72, s[60:61]                 // 000000006D20: D1000048 00F291E6
	v_cndmask_b32_e64 v61, v230, v61, s[60:61]                 // 000000006D28: D100003D 00F27BE6
	v_cndmask_b32_e64 v73, v230, v73, s[60:61]                 // 000000006D30: D1000049 00F293E6
	v_cndmask_b32_e64 v62, v230, v62, s[60:61]                 // 000000006D38: D100003E 00F27DE6
	v_cndmask_b32_e64 v74, v230, v74, s[60:61]                 // 000000006D40: D100004A 00F295E6
	v_cndmask_b32_e64 v63, v230, v63, s[60:61]                 // 000000006D48: D100003F 00F27FE6
	v_cndmask_b32_e64 v75, v230, v75, s[60:61]                 // 000000006D50: D100004B 00F297E6
	s_branch label_0B72                                        // 000000006D58: BF820009

0000000000006d5c <label_0B69>:
	v_mov_b32_e32 v60, v230                                    // 000000006D5C: 7E7803E6
	v_mov_b32_e32 v72, v230                                    // 000000006D60: 7E9003E6
	v_mov_b32_e32 v61, v230                                    // 000000006D64: 7E7A03E6
	v_mov_b32_e32 v73, v230                                    // 000000006D68: 7E9203E6
	v_mov_b32_e32 v62, v230                                    // 000000006D6C: 7E7C03E6
	v_mov_b32_e32 v74, v230                                    // 000000006D70: 7E9403E6
	v_mov_b32_e32 v63, v230                                    // 000000006D74: 7E7E03E6
	v_mov_b32_e32 v75, v230                                    // 000000006D78: 7E9603E6
	s_branch label_0B72                                        // 000000006D7C: BF820000

0000000000006d80 <label_0B72>:
	s_waitcnt lgkmcnt(8)                                       // 000000006D80: BF8CC87F
	s_barrier                                                  // 000000006D84: BF8A0000
	v_mfma_f32_16x16x16_bf16 v[76:79], v[108:109], a[72:73], 0 // 000000006D88: D3E1004C 1202916C
	ds_read_b128 a[96:99], v14 offset:4352                     // 000000006D90: DBFE1100 6000000E
	ds_read_b128 a[100:103], v14 offset:4864                   // 000000006D98: DBFE1300 6400000E
	v_mfma_f32_16x16x16_bf16 v[76:79], v[110:111], a[74:75], v[76:79]// 000000006DA0: D3E1004C 1532956E
	v_fma_f32 v52, v52, s57, -v140                             // 000000006DA8: D1CB0034 86307334
	v_fma_f32 v53, v53, s57, -v141                             // 000000006DB0: D1CB0035 86347335
	v_fma_f32 v54, v54, s57, -v142                             // 000000006DB8: D1CB0036 86387336
	v_fma_f32 v55, v55, s57, -v143                             // 000000006DC0: D1CB0037 863C7337
	v_fma_f32 v56, v56, s57, -v140                             // 000000006DC8: D1CB0038 86307338
	v_fma_f32 v57, v57, s57, -v141                             // 000000006DD0: D1CB0039 86347339
	v_mfma_f32_16x16x16_bf16 v[76:79], v[112:113], a[76:77], v[76:79]// 000000006DD8: D3E1004C 15329970
	v_fma_f32 v58, v58, s57, -v142                             // 000000006DE0: D1CB003A 8638733A
	v_fma_f32 v59, v59, s57, -v143                             // 000000006DE8: D1CB003B 863C733B
	v_fma_f32 v60, v60, s57, -v140                             // 000000006DF0: D1CB003C 8630733C
	v_fma_f32 v61, v61, s57, -v141                             // 000000006DF8: D1CB003D 8634733D
	v_fma_f32 v62, v62, s57, -v142                             // 000000006E00: D1CB003E 8638733E
	v_fma_f32 v63, v63, s57, -v143                             // 000000006E08: D1CB003F 863C733F
	v_mfma_f32_16x16x16_bf16 v[76:79], v[114:115], a[78:79], v[76:79]// 000000006E10: D3E1004C 15329D72
	v_fma_f32 v64, v64, s57, -v144                             // 000000006E18: D1CB0040 86407340
	v_fma_f32 v65, v65, s57, -v145                             // 000000006E20: D1CB0041 86447341
	v_fma_f32 v66, v66, s57, -v146                             // 000000006E28: D1CB0042 86487342
	v_fma_f32 v67, v67, s57, -v147                             // 000000006E30: D1CB0043 864C7343
	v_fma_f32 v68, v68, s57, -v144                             // 000000006E38: D1CB0044 86407344
	v_fma_f32 v69, v69, s57, -v145                             // 000000006E40: D1CB0045 86447345
	v_mfma_f32_16x16x16_bf16 v[80:83], v[108:109], a[80:81], 0 // 000000006E48: D3E10050 1202A16C
	ds_read_b128 a[104:107], v14 offset:6528                   // 000000006E50: DBFE1980 6800000E
	ds_read_b128 a[108:111], v14 offset:7040                   // 000000006E58: DBFE1B80 6C00000E
	v_mfma_f32_16x16x16_bf16 v[80:83], v[110:111], a[82:83], v[80:83]// 000000006E60: D3E10050 1542A56E
	v_fma_f32 v70, v70, s57, -v146                             // 000000006E68: D1CB0046 86487346
	v_fma_f32 v71, v71, s57, -v147                             // 000000006E70: D1CB0047 864C7347
	v_fma_f32 v72, v72, s57, -v144                             // 000000006E78: D1CB0048 86407348
	v_fma_f32 v73, v73, s57, -v145                             // 000000006E80: D1CB0049 86447349
	v_fma_f32 v74, v74, s57, -v146                             // 000000006E88: D1CB004A 8648734A
	v_fma_f32 v75, v75, s57, -v147                             // 000000006E90: D1CB004B 864C734B
	v_mfma_f32_16x16x16_bf16 v[80:83], v[112:113], a[84:85], v[80:83]// 000000006E98: D3E10050 1542A970
	v_exp_f32_e32 v52, v52                                     // 000000006EA0: 7E684134
	v_exp_f32_e32 v53, v53                                     // 000000006EA4: 7E6A4135
	v_mfma_f32_16x16x16_bf16 v[80:83], v[114:115], a[86:87], v[80:83]// 000000006EA8: D3E10050 1542AD72
	v_exp_f32_e32 v54, v54                                     // 000000006EB0: 7E6C4136
	v_exp_f32_e32 v55, v55                                     // 000000006EB4: 7E6E4137
	v_mfma_f32_16x16x16_bf16 v[84:87], v[108:109], a[88:89], 0 // 000000006EB8: D3E10054 1202B16C
	ds_read_b64 v[156:157], v21 offset:31232                   // 000000006EC0: D8EC7A00 9C000015
	ds_read_b64 v[158:159], v21 offset:33280                   // 000000006EC8: D8EC8200 9E000015
	v_mfma_f32_16x16x16_bf16 v[84:87], v[110:111], a[90:91], v[84:87]// 000000006ED0: D3E10054 1552B56E
	v_exp_f32_e32 v56, v56                                     // 000000006ED8: 7E704138
	v_exp_f32_e32 v57, v57                                     // 000000006EDC: 7E724139
	v_mfma_f32_16x16x16_bf16 v[84:87], v[112:113], a[92:93], v[84:87]// 000000006EE0: D3E10054 1552B970
	ds_read_b64 v[160:161], v21 offset:35328                   // 000000006EE8: D8EC8A00 A0000015
	ds_read_b64 v[162:163], v21 offset:37376                   // 000000006EF0: D8EC9200 A2000015
	v_mfma_f32_16x16x16_bf16 v[84:87], v[114:115], a[94:95], v[84:87]// 000000006EF8: D3E10054 1552BD72
	v_exp_f32_e32 v58, v58                                     // 000000006F00: 7E74413A
	v_exp_f32_e32 v59, v59                                     // 000000006F04: 7E76413B
	v_mfma_f32_16x16x16_bf16 v[88:91], v[116:117], a[72:73], 0 // 000000006F08: D3E10058 12029174
	v_exp_f32_e32 v60, v60                                     // 000000006F10: 7E78413C
	v_exp_f32_e32 v61, v61                                     // 000000006F14: 7E7A413D
	v_mfma_f32_16x16x16_bf16 v[88:91], v[118:119], a[74:75], v[88:91]// 000000006F18: D3E10058 15629576
	v_exp_f32_e32 v62, v62                                     // 000000006F20: 7E7C413E
	v_exp_f32_e32 v63, v63                                     // 000000006F24: 7E7E413F
	v_mfma_f32_16x16x16_bf16 v[88:91], v[120:121], a[76:77], v[88:91]// 000000006F28: D3E10058 15629978
	v_exp_f32_e32 v64, v64                                     // 000000006F30: 7E804140
	v_exp_f32_e32 v65, v65                                     // 000000006F34: 7E824141
	v_mfma_f32_16x16x16_bf16 v[88:91], v[122:123], a[78:79], v[88:91]// 000000006F38: D3E10058 15629D7A
	v_exp_f32_e32 v66, v66                                     // 000000006F40: 7E844142
	v_exp_f32_e32 v67, v67                                     // 000000006F44: 7E864143
	v_mfma_f32_16x16x16_bf16 v[92:95], v[116:117], a[80:81], 0 // 000000006F48: D3E1005C 1202A174
	v_exp_f32_e32 v68, v68                                     // 000000006F50: 7E884144
	v_exp_f32_e32 v69, v69                                     // 000000006F54: 7E8A4145
	v_mfma_f32_16x16x16_bf16 v[92:95], v[118:119], a[82:83], v[92:95]// 000000006F58: D3E1005C 1572A576
	v_exp_f32_e32 v70, v70                                     // 000000006F60: 7E8C4146
	v_exp_f32_e32 v71, v71                                     // 000000006F64: 7E8E4147
	v_mfma_f32_16x16x16_bf16 v[92:95], v[120:121], a[84:85], v[92:95]// 000000006F68: D3E1005C 1572A978
	v_exp_f32_e32 v72, v72                                     // 000000006F70: 7E904148
	v_exp_f32_e32 v73, v73                                     // 000000006F74: 7E924149
	v_mfma_f32_16x16x16_bf16 v[92:95], v[122:123], a[86:87], v[92:95]// 000000006F78: D3E1005C 1572AD7A
	v_exp_f32_e32 v74, v74                                     // 000000006F80: 7E94414A
	v_exp_f32_e32 v75, v75                                     // 000000006F84: 7E96414B
	v_mfma_f32_16x16x16_bf16 v[96:99], v[116:117], a[88:89], 0 // 000000006F88: D3E10060 1202B174
	v_cmp_u_f32_e64 s[74:75], v52, v52                         // 000000006F90: D048004A 00026934
	v_add3_u32 v226, v52, v229, 1                              // 000000006F98: D1FF00E2 0207CB34
	v_cndmask_b32_e64 v32, v226, v228, s[74:75]                // 000000006FA0: D1000020 012BC9E2
	v_cmp_u_f32_e64 s[74:75], v53, v53                         // 000000006FA8: D048004A 00026B35
	v_add3_u32 v226, v53, v229, 1                              // 000000006FB0: D1FF00E2 0207CB35
	v_cndmask_b32_e64 v33, v226, v228, s[74:75]                // 000000006FB8: D1000021 012BC9E2
	v_perm_b32 v164, v33, v32, s64                             // 000000006FC0: D1ED00A4 01024121
	v_cmp_u_f32_e64 s[74:75], v54, v54                         // 000000006FC8: D048004A 00026D36
	v_add3_u32 v226, v54, v229, 1                              // 000000006FD0: D1FF00E2 0207CB36
	v_cndmask_b32_e64 v32, v226, v228, s[74:75]                // 000000006FD8: D1000020 012BC9E2
	v_cmp_u_f32_e64 s[74:75], v55, v55                         // 000000006FE0: D048004A 00026F37
	v_add3_u32 v226, v55, v229, 1                              // 000000006FE8: D1FF00E2 0207CB37
	v_cndmask_b32_e64 v33, v226, v228, s[74:75]                // 000000006FF0: D1000021 012BC9E2
	v_perm_b32 v165, v33, v32, s64                             // 000000006FF8: D1ED00A5 01024121
	v_cmp_u_f32_e64 s[74:75], v56, v56                         // 000000007000: D048004A 00027138
	v_add3_u32 v226, v56, v229, 1                              // 000000007008: D1FF00E2 0207CB38
	v_cndmask_b32_e64 v32, v226, v228, s[74:75]                // 000000007010: D1000020 012BC9E2
	v_cmp_u_f32_e64 s[74:75], v57, v57                         // 000000007018: D048004A 00027339
	v_add3_u32 v226, v57, v229, 1                              // 000000007020: D1FF00E2 0207CB39
	v_cndmask_b32_e64 v33, v226, v228, s[74:75]                // 000000007028: D1000021 012BC9E2
	v_perm_b32 v166, v33, v32, s64                             // 000000007030: D1ED00A6 01024121
	v_cmp_u_f32_e64 s[74:75], v58, v58                         // 000000007038: D048004A 0002753A
	v_add3_u32 v226, v58, v229, 1                              // 000000007040: D1FF00E2 0207CB3A
	v_cndmask_b32_e64 v32, v226, v228, s[74:75]                // 000000007048: D1000020 012BC9E2
	v_cmp_u_f32_e64 s[74:75], v59, v59                         // 000000007050: D048004A 0002773B
	v_add3_u32 v226, v59, v229, 1                              // 000000007058: D1FF00E2 0207CB3B
	v_cndmask_b32_e64 v33, v226, v228, s[74:75]                // 000000007060: D1000021 012BC9E2
	v_perm_b32 v167, v33, v32, s64                             // 000000007068: D1ED00A7 01024121
	v_cmp_u_f32_e64 s[74:75], v60, v60                         // 000000007070: D048004A 0002793C
	v_add3_u32 v226, v60, v229, 1                              // 000000007078: D1FF00E2 0207CB3C
	v_cndmask_b32_e64 v32, v226, v228, s[74:75]                // 000000007080: D1000020 012BC9E2
	v_cmp_u_f32_e64 s[74:75], v61, v61                         // 000000007088: D048004A 00027B3D
	v_add3_u32 v226, v61, v229, 1                              // 000000007090: D1FF00E2 0207CB3D
	v_cndmask_b32_e64 v33, v226, v228, s[74:75]                // 000000007098: D1000021 012BC9E2
	v_perm_b32 v168, v33, v32, s64                             // 0000000070A0: D1ED00A8 01024121
	v_cmp_u_f32_e64 s[74:75], v62, v62                         // 0000000070A8: D048004A 00027D3E
	v_add3_u32 v226, v62, v229, 1                              // 0000000070B0: D1FF00E2 0207CB3E
	v_cndmask_b32_e64 v32, v226, v228, s[74:75]                // 0000000070B8: D1000020 012BC9E2
	v_cmp_u_f32_e64 s[74:75], v63, v63                         // 0000000070C0: D048004A 00027F3F
	v_add3_u32 v226, v63, v229, 1                              // 0000000070C8: D1FF00E2 0207CB3F
	v_cndmask_b32_e64 v33, v226, v228, s[74:75]                // 0000000070D0: D1000021 012BC9E2
	v_perm_b32 v169, v33, v32, s64                             // 0000000070D8: D1ED00A9 01024121
	v_mfma_f32_16x16x16_bf16 v[96:99], v[118:119], a[90:91], v[96:99]// 0000000070E0: D3E10060 1582B576
	v_cmp_u_f32_e64 s[74:75], v64, v64                         // 0000000070E8: D048004A 00028140
	v_add3_u32 v226, v64, v229, 1                              // 0000000070F0: D1FF00E2 0207CB40
	v_cndmask_b32_e64 v32, v226, v228, s[74:75]                // 0000000070F8: D1000020 012BC9E2
	v_cmp_u_f32_e64 s[74:75], v65, v65                         // 000000007100: D048004A 00028341
	v_add3_u32 v226, v65, v229, 1                              // 000000007108: D1FF00E2 0207CB41
	v_cndmask_b32_e64 v33, v226, v228, s[74:75]                // 000000007110: D1000021 012BC9E2
	v_perm_b32 v170, v33, v32, s64                             // 000000007118: D1ED00AA 01024121
	v_cmp_u_f32_e64 s[74:75], v66, v66                         // 000000007120: D048004A 00028542
	v_add3_u32 v226, v66, v229, 1                              // 000000007128: D1FF00E2 0207CB42
	v_cndmask_b32_e64 v32, v226, v228, s[74:75]                // 000000007130: D1000020 012BC9E2
	v_cmp_u_f32_e64 s[74:75], v67, v67                         // 000000007138: D048004A 00028743
	v_add3_u32 v226, v67, v229, 1                              // 000000007140: D1FF00E2 0207CB43
	v_cndmask_b32_e64 v33, v226, v228, s[74:75]                // 000000007148: D1000021 012BC9E2
	v_perm_b32 v171, v33, v32, s64                             // 000000007150: D1ED00AB 01024121
	v_cmp_u_f32_e64 s[74:75], v68, v68                         // 000000007158: D048004A 00028944
	v_add3_u32 v226, v68, v229, 1                              // 000000007160: D1FF00E2 0207CB44
	v_cndmask_b32_e64 v32, v226, v228, s[74:75]                // 000000007168: D1000020 012BC9E2
	v_cmp_u_f32_e64 s[74:75], v69, v69                         // 000000007170: D048004A 00028B45
	v_add3_u32 v226, v69, v229, 1                              // 000000007178: D1FF00E2 0207CB45
	v_cndmask_b32_e64 v33, v226, v228, s[74:75]                // 000000007180: D1000021 012BC9E2
	v_perm_b32 v172, v33, v32, s64                             // 000000007188: D1ED00AC 01024121
	v_cmp_u_f32_e64 s[74:75], v70, v70                         // 000000007190: D048004A 00028D46
	v_add3_u32 v226, v70, v229, 1                              // 000000007198: D1FF00E2 0207CB46
	v_cndmask_b32_e64 v32, v226, v228, s[74:75]                // 0000000071A0: D1000020 012BC9E2
	v_cmp_u_f32_e64 s[74:75], v71, v71                         // 0000000071A8: D048004A 00028F47
	v_add3_u32 v226, v71, v229, 1                              // 0000000071B0: D1FF00E2 0207CB47
	v_cndmask_b32_e64 v33, v226, v228, s[74:75]                // 0000000071B8: D1000021 012BC9E2
	v_perm_b32 v173, v33, v32, s64                             // 0000000071C0: D1ED00AD 01024121
	v_cmp_u_f32_e64 s[74:75], v72, v72                         // 0000000071C8: D048004A 00029148
	v_add3_u32 v226, v72, v229, 1                              // 0000000071D0: D1FF00E2 0207CB48
	v_cndmask_b32_e64 v32, v226, v228, s[74:75]                // 0000000071D8: D1000020 012BC9E2
	v_cmp_u_f32_e64 s[74:75], v73, v73                         // 0000000071E0: D048004A 00029349
	v_add3_u32 v226, v73, v229, 1                              // 0000000071E8: D1FF00E2 0207CB49
	v_cndmask_b32_e64 v33, v226, v228, s[74:75]                // 0000000071F0: D1000021 012BC9E2
	v_perm_b32 v174, v33, v32, s64                             // 0000000071F8: D1ED00AE 01024121
	v_cmp_u_f32_e64 s[74:75], v74, v74                         // 000000007200: D048004A 0002954A
	v_add3_u32 v226, v74, v229, 1                              // 000000007208: D1FF00E2 0207CB4A
	v_cndmask_b32_e64 v32, v226, v228, s[74:75]                // 000000007210: D1000020 012BC9E2
	v_cmp_u_f32_e64 s[74:75], v75, v75                         // 000000007218: D048004A 0002974B
	v_add3_u32 v226, v75, v229, 1                              // 000000007220: D1FF00E2 0207CB4B
	v_cndmask_b32_e64 v33, v226, v228, s[74:75]                // 000000007228: D1000021 012BC9E2
	v_perm_b32 v175, v33, v32, s64                             // 000000007230: D1ED00AF 01024121
	v_mfma_f32_16x16x16_bf16 v[96:99], v[120:121], a[92:93], v[96:99]// 000000007238: D3E10060 1582B978
	v_add_u32_e32 v6, s66, v6                                  // 000000007240: 680C0C42
	v_add_u32_e32 v7, s66, v7                                  // 000000007244: 680E0E42
	v_add_u32_e32 v8, s66, v8                                  // 000000007248: 68101042
	v_add_u32_e32 v9, s66, v9                                  // 00000000724C: 68121242
	v_mfma_f32_16x16x16_bf16 v[96:99], v[122:123], a[94:95], v[96:99]// 000000007250: D3E10060 1582BD7A
	s_waitcnt lgkmcnt(0)                                       // 000000007258: BF8CC07F
	s_barrier                                                  // 00000000725C: BF8A0000
	v_mfma_f32_16x16x16_bf16 v[178:181], v[124:125], v[164:165], v[178:181]// 000000007260: D3E100B2 06CB497C
	v_subrev_f32_dpp v76, v176, v76 quad_perm:[0,0,0,0] row_mask:0xf bank_mask:0xf// 000000007268: 069898FA FF0000B0
	v_subrev_f32_dpp v77, v176, v77 quad_perm:[1,1,1,1] row_mask:0xf bank_mask:0xf// 000000007270: 069A9AFA FF0055B0
	v_subrev_f32_dpp v78, v176, v78 quad_perm:[2,2,2,2] row_mask:0xf bank_mask:0xf// 000000007278: 069C9CFA FF00AAB0
	v_subrev_f32_dpp v79, v176, v79 quad_perm:[3,3,3,3] row_mask:0xf bank_mask:0xf// 000000007280: 069E9EFA FF00FFB0
	v_subrev_f32_dpp v80, v176, v80 quad_perm:[0,0,0,0] row_mask:0xf bank_mask:0xf// 000000007288: 06A0A0FA FF0000B0
	v_subrev_f32_dpp v81, v176, v81 quad_perm:[1,1,1,1] row_mask:0xf bank_mask:0xf// 000000007290: 06A2A2FA FF0055B0
	v_mfma_f32_16x16x16_bf16 v[182:185], v[126:127], v[164:165], v[182:185]// 000000007298: D3E100B6 06DB497E
	v_subrev_f32_dpp v82, v176, v82 quad_perm:[2,2,2,2] row_mask:0xf bank_mask:0xf// 0000000072A0: 06A4A4FA FF00AAB0
	v_subrev_f32_dpp v83, v176, v83 quad_perm:[3,3,3,3] row_mask:0xf bank_mask:0xf// 0000000072A8: 06A6A6FA FF00FFB0
	v_subrev_f32_dpp v84, v176, v84 quad_perm:[0,0,0,0] row_mask:0xf bank_mask:0xf// 0000000072B0: 06A8A8FA FF0000B0
	v_subrev_f32_dpp v85, v176, v85 quad_perm:[1,1,1,1] row_mask:0xf bank_mask:0xf// 0000000072B8: 06AAAAFA FF0055B0
	v_subrev_f32_dpp v86, v176, v86 quad_perm:[2,2,2,2] row_mask:0xf bank_mask:0xf// 0000000072C0: 06ACACFA FF00AAB0
	v_subrev_f32_dpp v87, v176, v87 quad_perm:[3,3,3,3] row_mask:0xf bank_mask:0xf// 0000000072C8: 06AEAEFA FF00FFB0
	v_mfma_f32_16x16x16_bf16 v[186:189], v[128:129], v[164:165], v[186:189]// 0000000072D0: D3E100BA 06EB4980
	v_mul_f32_e32 v76, v52, v76                                // 0000000072D8: 0A989934
	v_mul_f32_e32 v77, v53, v77                                // 0000000072DC: 0A9A9B35
	v_mul_f32_e32 v78, v54, v78                                // 0000000072E0: 0A9C9D36
	v_mul_f32_e32 v79, v55, v79                                // 0000000072E4: 0A9E9F37
	v_mul_f32_e32 v80, v56, v80                                // 0000000072E8: 0AA0A138
	v_mul_f32_e32 v81, v57, v81                                // 0000000072EC: 0AA2A339
	v_mfma_f32_16x16x16_bf16 v[190:193], v[130:131], v[164:165], v[190:193]// 0000000072F0: D3E100BE 06FB4982
	v_mul_f32_e32 v82, v58, v82                                // 0000000072F8: 0AA4A53A
	v_mul_f32_e32 v83, v59, v83                                // 0000000072FC: 0AA6A73B
	v_mul_f32_e32 v84, v60, v84                                // 000000007300: 0AA8A93C
	v_mul_f32_e32 v85, v61, v85                                // 000000007304: 0AAAAB3D
	v_mul_f32_e32 v86, v62, v86                                // 000000007308: 0AACAD3E
	v_mul_f32_e32 v87, v63, v87                                // 00000000730C: 0AAEAF3F
	v_mfma_f32_16x16x16_bf16 v[194:197], v[124:125], v[166:167], v[194:197]// 000000007310: D3E100C2 070B4D7C
	v_cmp_u_f32_e64 s[74:75], v76, v76                         // 000000007318: D048004A 0002994C
	v_add3_u32 v226, v76, v229, 1                              // 000000007320: D1FF00E2 0207CB4C
	v_cndmask_b32_e64 v32, v226, v228, s[74:75]                // 000000007328: D1000020 012BC9E2
	v_cmp_u_f32_e64 s[74:75], v77, v77                         // 000000007330: D048004A 00029B4D
	v_add3_u32 v226, v77, v229, 1                              // 000000007338: D1FF00E2 0207CB4D
	v_cndmask_b32_e64 v33, v226, v228, s[74:75]                // 000000007340: D1000021 012BC9E2
	v_perm_b32 v76, v33, v32, s64                              // 000000007348: D1ED004C 01024121
	v_cmp_u_f32_e64 s[74:75], v78, v78                         // 000000007350: D048004A 00029D4E
	v_add3_u32 v226, v78, v229, 1                              // 000000007358: D1FF00E2 0207CB4E
	v_cndmask_b32_e64 v32, v226, v228, s[74:75]                // 000000007360: D1000020 012BC9E2
	v_cmp_u_f32_e64 s[74:75], v79, v79                         // 000000007368: D048004A 00029F4F
	v_add3_u32 v226, v79, v229, 1                              // 000000007370: D1FF00E2 0207CB4F
	v_cndmask_b32_e64 v33, v226, v228, s[74:75]                // 000000007378: D1000021 012BC9E2
	v_perm_b32 v77, v33, v32, s64                              // 000000007380: D1ED004D 01024121
	v_cmp_u_f32_e64 s[74:75], v80, v80                         // 000000007388: D048004A 0002A150
	v_add3_u32 v226, v80, v229, 1                              // 000000007390: D1FF00E2 0207CB50
	v_cndmask_b32_e64 v32, v226, v228, s[74:75]                // 000000007398: D1000020 012BC9E2
	v_cmp_u_f32_e64 s[74:75], v81, v81                         // 0000000073A0: D048004A 0002A351
	v_add3_u32 v226, v81, v229, 1                              // 0000000073A8: D1FF00E2 0207CB51
	v_cndmask_b32_e64 v33, v226, v228, s[74:75]                // 0000000073B0: D1000021 012BC9E2
	v_perm_b32 v78, v33, v32, s64                              // 0000000073B8: D1ED004E 01024121
	v_cmp_u_f32_e64 s[74:75], v82, v82                         // 0000000073C0: D048004A 0002A552
	v_add3_u32 v226, v82, v229, 1                              // 0000000073C8: D1FF00E2 0207CB52
	v_cndmask_b32_e64 v32, v226, v228, s[74:75]                // 0000000073D0: D1000020 012BC9E2
	v_cmp_u_f32_e64 s[74:75], v83, v83                         // 0000000073D8: D048004A 0002A753
	v_add3_u32 v226, v83, v229, 1                              // 0000000073E0: D1FF00E2 0207CB53
	v_cndmask_b32_e64 v33, v226, v228, s[74:75]                // 0000000073E8: D1000021 012BC9E2
	v_perm_b32 v79, v33, v32, s64                              // 0000000073F0: D1ED004F 01024121
	v_cmp_u_f32_e64 s[74:75], v84, v84                         // 0000000073F8: D048004A 0002A954
	v_add3_u32 v226, v84, v229, 1                              // 000000007400: D1FF00E2 0207CB54
	v_cndmask_b32_e64 v32, v226, v228, s[74:75]                // 000000007408: D1000020 012BC9E2
	v_cmp_u_f32_e64 s[74:75], v85, v85                         // 000000007410: D048004A 0002AB55
	v_add3_u32 v226, v85, v229, 1                              // 000000007418: D1FF00E2 0207CB55
	v_cndmask_b32_e64 v33, v226, v228, s[74:75]                // 000000007420: D1000021 012BC9E2
	v_perm_b32 v80, v33, v32, s64                              // 000000007428: D1ED0050 01024121
	v_cmp_u_f32_e64 s[74:75], v86, v86                         // 000000007430: D048004A 0002AD56
	v_add3_u32 v226, v86, v229, 1                              // 000000007438: D1FF00E2 0207CB56
	v_cndmask_b32_e64 v32, v226, v228, s[74:75]                // 000000007440: D1000020 012BC9E2
	v_cmp_u_f32_e64 s[74:75], v87, v87                         // 000000007448: D048004A 0002AF57
	v_add3_u32 v226, v87, v229, 1                              // 000000007450: D1FF00E2 0207CB57
	v_cndmask_b32_e64 v33, v226, v228, s[74:75]                // 000000007458: D1000021 012BC9E2
	v_perm_b32 v81, v33, v32, s64                              // 000000007460: D1ED0051 01024121
	v_mfma_f32_16x16x16_bf16 v[198:201], v[126:127], v[166:167], v[198:201]// 000000007468: D3E100C6 071B4D7E
	v_mov_b32_dpp v18, v76 quad_perm:[1,0,3,2] row_mask:0xf bank_mask:0xf// 000000007470: 7E2402FA FF00B14C
	v_perm_b32 v52, v18, v76, v17                              // 000000007478: D1ED0034 04469912
	v_mov_b32_dpp v18, v77 quad_perm:[1,0,3,2] row_mask:0xf bank_mask:0xf// 000000007480: 7E2402FA FF00B14D
	v_perm_b32 v53, v18, v77, v17                              // 000000007488: D1ED0035 04469B12
	v_mov_b32_dpp v18, v78 quad_perm:[1,0,3,2] row_mask:0xf bank_mask:0xf// 000000007490: 7E2402FA FF00B14E
	v_perm_b32 v54, v18, v78, v17                              // 000000007498: D1ED0036 04469D12
	v_mfma_f32_16x16x16_bf16 v[202:205], v[128:129], v[166:167], v[202:205]// 0000000074A0: D3E100CA 072B4D80
	v_mov_b32_dpp v18, v79 quad_perm:[1,0,3,2] row_mask:0xf bank_mask:0xf// 0000000074A8: 7E2402FA FF00B14F
	v_perm_b32 v55, v18, v79, v17                              // 0000000074B0: D1ED0037 04469F12
	v_mov_b32_dpp v18, v80 quad_perm:[1,0,3,2] row_mask:0xf bank_mask:0xf// 0000000074B8: 7E2402FA FF00B150
	v_perm_b32 v56, v18, v80, v17                              // 0000000074C0: D1ED0038 0446A112
	v_mov_b32_dpp v18, v81 quad_perm:[1,0,3,2] row_mask:0xf bank_mask:0xf// 0000000074C8: 7E2402FA FF00B151
	v_perm_b32 v57, v18, v81, v17                              // 0000000074D0: D1ED0039 0446A312
	v_mfma_f32_16x16x16_bf16 v[206:209], v[130:131], v[166:167], v[206:209]// 0000000074D8: D3E100CE 073B4D82
	ds_write_b32 v20, v52 offset:17408                         // 0000000074E0: D81A4400 00003414
	ds_write_b32 v20, v53 offset:17952                         // 0000000074E8: D81A4620 00003514
	v_mfma_f32_16x16x16_bf16 v[210:213], v[124:125], v[168:169], v[210:213]// 0000000074F0: D3E100D2 074B517C
	v_subrev_f32_dpp v88, v177, v88 quad_perm:[0,0,0,0] row_mask:0xf bank_mask:0xf// 0000000074F8: 06B0B0FA FF0000B1
	v_subrev_f32_dpp v89, v177, v89 quad_perm:[1,1,1,1] row_mask:0xf bank_mask:0xf// 000000007500: 06B2B2FA FF0055B1
	v_subrev_f32_dpp v90, v177, v90 quad_perm:[2,2,2,2] row_mask:0xf bank_mask:0xf// 000000007508: 06B4B4FA FF00AAB1
	v_subrev_f32_dpp v91, v177, v91 quad_perm:[3,3,3,3] row_mask:0xf bank_mask:0xf// 000000007510: 06B6B6FA FF00FFB1
	v_subrev_f32_dpp v92, v177, v92 quad_perm:[0,0,0,0] row_mask:0xf bank_mask:0xf// 000000007518: 06B8B8FA FF0000B1
	v_subrev_f32_dpp v93, v177, v93 quad_perm:[1,1,1,1] row_mask:0xf bank_mask:0xf// 000000007520: 06BABAFA FF0055B1
	v_mfma_f32_16x16x16_bf16 v[214:217], v[126:127], v[168:169], v[214:217]// 000000007528: D3E100D6 075B517E
	ds_write_b32 v20, v54 offset:19712                         // 000000007530: D81A4D00 00003614
	ds_write_b32 v20, v55 offset:20256                         // 000000007538: D81A4F20 00003714
	v_mfma_f32_16x16x16_bf16 v[218:221], v[128:129], v[168:169], v[218:221]// 000000007540: D3E100DA 076B5180
	v_subrev_f32_dpp v94, v177, v94 quad_perm:[2,2,2,2] row_mask:0xf bank_mask:0xf// 000000007548: 06BCBCFA FF00AAB1
	v_subrev_f32_dpp v95, v177, v95 quad_perm:[3,3,3,3] row_mask:0xf bank_mask:0xf// 000000007550: 06BEBEFA FF00FFB1
	v_subrev_f32_dpp v96, v177, v96 quad_perm:[0,0,0,0] row_mask:0xf bank_mask:0xf// 000000007558: 06C0C0FA FF0000B1
	v_subrev_f32_dpp v97, v177, v97 quad_perm:[1,1,1,1] row_mask:0xf bank_mask:0xf// 000000007560: 06C2C2FA FF0055B1
	v_subrev_f32_dpp v98, v177, v98 quad_perm:[2,2,2,2] row_mask:0xf bank_mask:0xf// 000000007568: 06C4C4FA FF00AAB1
	v_subrev_f32_dpp v99, v177, v99 quad_perm:[3,3,3,3] row_mask:0xf bank_mask:0xf// 000000007570: 06C6C6FA FF00FFB1
	v_mfma_f32_16x16x16_bf16 v[222:225], v[130:131], v[168:169], v[222:225]// 000000007578: D3E100DE 077B5182
	ds_write_b32 v20, v56 offset:22016                         // 000000007580: D81A5600 00003814
	ds_write_b32 v20, v57 offset:22560                         // 000000007588: D81A5820 00003914
	v_mfma_f32_16x16x16_bf16 v[178:181], v[132:133], v[170:171], v[178:181]// 000000007590: D3E100B2 06CB5584
	v_mul_f32_e32 v88, v64, v88                                // 000000007598: 0AB0B140
	v_mul_f32_e32 v89, v65, v89                                // 00000000759C: 0AB2B341
	v_mul_f32_e32 v90, v66, v90                                // 0000000075A0: 0AB4B542
	v_mul_f32_e32 v91, v67, v91                                // 0000000075A4: 0AB6B743
	v_mul_f32_e32 v92, v68, v92                                // 0000000075A8: 0AB8B944
	v_mul_f32_e32 v93, v69, v93                                // 0000000075AC: 0ABABB45
	v_mfma_f32_16x16x16_bf16 v[182:185], v[134:135], v[170:171], v[182:185]// 0000000075B0: D3E100B6 06DB5586
	v_mul_f32_e32 v94, v70, v94                                // 0000000075B8: 0ABCBD46
	v_mul_f32_e32 v95, v71, v95                                // 0000000075BC: 0ABEBF47
	v_mul_f32_e32 v96, v72, v96                                // 0000000075C0: 0AC0C148
	v_mul_f32_e32 v97, v73, v97                                // 0000000075C4: 0AC2C349
	v_mul_f32_e32 v98, v74, v98                                // 0000000075C8: 0AC4C54A
	v_mul_f32_e32 v99, v75, v99                                // 0000000075CC: 0AC6C74B
	v_mfma_f32_16x16x16_bf16 v[186:189], v[136:137], v[170:171], v[186:189]// 0000000075D0: D3E100BA 06EB5588
	v_cmp_u_f32_e64 s[74:75], v88, v88                         // 0000000075D8: D048004A 0002B158
	v_add3_u32 v226, v88, v229, 1                              // 0000000075E0: D1FF00E2 0207CB58
	v_cndmask_b32_e64 v32, v226, v228, s[74:75]                // 0000000075E8: D1000020 012BC9E2
	v_cmp_u_f32_e64 s[74:75], v89, v89                         // 0000000075F0: D048004A 0002B359
	v_add3_u32 v226, v89, v229, 1                              // 0000000075F8: D1FF00E2 0207CB59
	v_cndmask_b32_e64 v33, v226, v228, s[74:75]                // 000000007600: D1000021 012BC9E2
	v_perm_b32 v82, v33, v32, s64                              // 000000007608: D1ED0052 01024121
	v_cmp_u_f32_e64 s[74:75], v90, v90                         // 000000007610: D048004A 0002B55A
	v_add3_u32 v226, v90, v229, 1                              // 000000007618: D1FF00E2 0207CB5A
	v_cndmask_b32_e64 v32, v226, v228, s[74:75]                // 000000007620: D1000020 012BC9E2
	v_cmp_u_f32_e64 s[74:75], v91, v91                         // 000000007628: D048004A 0002B75B
	v_add3_u32 v226, v91, v229, 1                              // 000000007630: D1FF00E2 0207CB5B
	v_cndmask_b32_e64 v33, v226, v228, s[74:75]                // 000000007638: D1000021 012BC9E2
	v_perm_b32 v83, v33, v32, s64                              // 000000007640: D1ED0053 01024121
	v_cmp_u_f32_e64 s[74:75], v92, v92                         // 000000007648: D048004A 0002B95C
	v_add3_u32 v226, v92, v229, 1                              // 000000007650: D1FF00E2 0207CB5C
	v_cndmask_b32_e64 v32, v226, v228, s[74:75]                // 000000007658: D1000020 012BC9E2
	v_cmp_u_f32_e64 s[74:75], v93, v93                         // 000000007660: D048004A 0002BB5D
	v_add3_u32 v226, v93, v229, 1                              // 000000007668: D1FF00E2 0207CB5D
	v_cndmask_b32_e64 v33, v226, v228, s[74:75]                // 000000007670: D1000021 012BC9E2
	v_perm_b32 v84, v33, v32, s64                              // 000000007678: D1ED0054 01024121
	v_cmp_u_f32_e64 s[74:75], v94, v94                         // 000000007680: D048004A 0002BD5E
	v_add3_u32 v226, v94, v229, 1                              // 000000007688: D1FF00E2 0207CB5E
	v_cndmask_b32_e64 v32, v226, v228, s[74:75]                // 000000007690: D1000020 012BC9E2
	v_cmp_u_f32_e64 s[74:75], v95, v95                         // 000000007698: D048004A 0002BF5F
	v_add3_u32 v226, v95, v229, 1                              // 0000000076A0: D1FF00E2 0207CB5F
	v_cndmask_b32_e64 v33, v226, v228, s[74:75]                // 0000000076A8: D1000021 012BC9E2
	v_perm_b32 v85, v33, v32, s64                              // 0000000076B0: D1ED0055 01024121
	v_cmp_u_f32_e64 s[74:75], v96, v96                         // 0000000076B8: D048004A 0002C160
	v_add3_u32 v226, v96, v229, 1                              // 0000000076C0: D1FF00E2 0207CB60
	v_cndmask_b32_e64 v32, v226, v228, s[74:75]                // 0000000076C8: D1000020 012BC9E2
	v_cmp_u_f32_e64 s[74:75], v97, v97                         // 0000000076D0: D048004A 0002C361
	v_add3_u32 v226, v97, v229, 1                              // 0000000076D8: D1FF00E2 0207CB61
	v_cndmask_b32_e64 v33, v226, v228, s[74:75]                // 0000000076E0: D1000021 012BC9E2
	v_perm_b32 v86, v33, v32, s64                              // 0000000076E8: D1ED0056 01024121
	v_cmp_u_f32_e64 s[74:75], v98, v98                         // 0000000076F0: D048004A 0002C562
	v_add3_u32 v226, v98, v229, 1                              // 0000000076F8: D1FF00E2 0207CB62
	v_cndmask_b32_e64 v32, v226, v228, s[74:75]                // 000000007700: D1000020 012BC9E2
	v_cmp_u_f32_e64 s[74:75], v99, v99                         // 000000007708: D048004A 0002C763
	v_add3_u32 v226, v99, v229, 1                              // 000000007710: D1FF00E2 0207CB63
	v_cndmask_b32_e64 v33, v226, v228, s[74:75]                // 000000007718: D1000021 012BC9E2
	v_perm_b32 v87, v33, v32, s64                              // 000000007720: D1ED0057 01024121
	v_mfma_f32_16x16x16_bf16 v[190:193], v[138:139], v[170:171], v[190:193]// 000000007728: D3E100BE 06FB558A
	v_mov_b32_dpp v18, v82 quad_perm:[1,0,3,2] row_mask:0xf bank_mask:0xf// 000000007730: 7E2402FA FF00B152
	v_perm_b32 v58, v18, v82, v17                              // 000000007738: D1ED003A 0446A512
	v_mov_b32_dpp v18, v83 quad_perm:[1,0,3,2] row_mask:0xf bank_mask:0xf// 000000007740: 7E2402FA FF00B153
	v_perm_b32 v59, v18, v83, v17                              // 000000007748: D1ED003B 0446A712
	v_mov_b32_dpp v18, v84 quad_perm:[1,0,3,2] row_mask:0xf bank_mask:0xf// 000000007750: 7E2402FA FF00B154
	v_perm_b32 v60, v18, v84, v17                              // 000000007758: D1ED003C 0446A912
	v_mfma_f32_16x16x16_bf16 v[194:197], v[132:133], v[172:173], v[194:197]// 000000007760: D3E100C2 070B5984
	v_mov_b32_dpp v18, v85 quad_perm:[1,0,3,2] row_mask:0xf bank_mask:0xf// 000000007768: 7E2402FA FF00B155
	v_perm_b32 v61, v18, v85, v17                              // 000000007770: D1ED003D 0446AB12
	v_mov_b32_dpp v18, v86 quad_perm:[1,0,3,2] row_mask:0xf bank_mask:0xf// 000000007778: 7E2402FA FF00B156
	v_perm_b32 v62, v18, v86, v17                              // 000000007780: D1ED003E 0446AD12
	v_mov_b32_dpp v18, v87 quad_perm:[1,0,3,2] row_mask:0xf bank_mask:0xf// 000000007788: 7E2402FA FF00B157
	v_perm_b32 v63, v18, v87, v17                              // 000000007790: D1ED003F 0446AF12
	v_mfma_f32_16x16x16_bf16 v[198:201], v[134:135], v[172:173], v[198:201]// 000000007798: D3E100C6 071B5986
	ds_write_b32 v20, v58 offset:24320                         // 0000000077A0: D81A5F00 00003A14
	ds_write_b32 v20, v59 offset:24864                         // 0000000077A8: D81A6120 00003B14
	v_mfma_f32_16x16x16_bf16 v[202:205], v[136:137], v[172:173], v[202:205]// 0000000077B0: D3E100CA 072B5988
	v_mfma_f32_16x16x16_bf16 v[206:209], v[138:139], v[172:173], v[206:209]// 0000000077B8: D3E100CE 073B598A
	ds_write_b32 v20, v60 offset:26624                         // 0000000077C0: D81A6800 00003C14
	ds_write_b32 v20, v61 offset:27168                         // 0000000077C8: D81A6A20 00003D14
	ds_write_b32 v20, v62 offset:28928                         // 0000000077D0: D81A7100 00003E14
	ds_write_b32 v20, v63 offset:29472                         // 0000000077D8: D81A7320 00003F14
	v_mfma_f32_16x16x16_bf16 v[210:213], v[132:133], v[174:175], v[210:213]// 0000000077E0: D3E100D2 074B5D84
	v_mfma_f32_16x16x16_bf16 v[214:217], v[134:135], v[174:175], v[214:217]// 0000000077E8: D3E100D6 075B5D86
	ds_write_b32 v15, v100 offset:4352                         // 0000000077F0: D81A1100 0000640F
	ds_write_b32 v15, v101 offset:5408                         // 0000000077F8: D81A1520 0000650F
	v_mfma_f32_16x16x16_bf16 v[218:221], v[136:137], v[174:175], v[218:221]// 000000007800: D3E100DA 076B5D88
	s_nop 0                                                    // 000000007808: BF800000
	s_nop 0                                                    // 00000000780C: BF800000
	s_nop 0                                                    // 000000007810: BF800000
	v_mfma_f32_16x16x16_bf16 v[222:225], v[138:139], v[174:175], v[222:225]// 000000007814: D3E100DE 077B5D8A
	ds_write_b32 v15, v102 offset:6528                         // 00000000781C: D81A1980 0000660F
	ds_write_b32 v15, v103 offset:7584                         // 000000007824: D81A1DA0 0000670F
	s_barrier                                                  // 00000000782C: BF8A0000
	v_mfma_f32_16x16x16_bf16 a[112:115], a[96:97], v[76:77], a[112:115]// 000000007830: D3E18070 0DC29960
	buffer_atomic_add_f32 v156, v6, s[32:35], 0 idxen          // 000000007838: E1342000 80089C06
	v_mfma_f32_16x16x16_bf16 a[116:119], a[98:99], v[76:77], a[116:119]// 000000007840: D3E18074 0DD29962
	ds_read_b32 v140, v23 offset:39424                         // 000000007848: D86C9A00 8C000017
	ds_read_b32 v144, v23 offset:39488                         // 000000007850: D86C9A40 90000017
	ds_read_b32 v176, v23 offset:39680                         // 000000007858: D86C9B00 B0000017
	ds_read_b32 v177, v23 offset:39744                         // 000000007860: D86C9B40 B1000017
	v_mfma_f32_16x16x16_bf16 a[120:123], a[100:101], v[76:77], a[120:123]// 000000007868: D3E18078 0DE29964
	s_waitcnt lgkmcnt(8)                                       // 000000007870: BF8CC87F
	s_barrier                                                  // 000000007874: BF8A0000
	v_mfma_f32_16x16x16_bf16 a[124:127], a[102:103], v[76:77], a[124:127]// 000000007878: D3E1807C 0DF29966
	ds_read_b128 v[52:55], v19 offset:17408                    // 000000007880: D9FE4400 34000013
	v_mfma_f32_16x16x16_bf16 a[128:131], a[96:97], v[78:79], a[128:131]// 000000007888: D3E18080 0E029D60
	v_mfma_f32_16x16x16_bf16 a[132:135], a[98:99], v[78:79], a[132:135]// 000000007890: D3E18084 0E129D62
	ds_read_b128 v[56:59], v19 offset:18560                    // 000000007898: D9FE4880 38000013
	v_mfma_f32_16x16x16_bf16 a[136:139], a[100:101], v[78:79], a[136:139]// 0000000078A0: D3E18088 0E229D64
	buffer_atomic_add_f32 v157, v7, s[32:35], 0 idxen          // 0000000078A8: E1342000 80089D07
	v_mfma_f32_16x16x16_bf16 a[140:143], a[102:103], v[78:79], a[140:143]// 0000000078B0: D3E1808C 0E329D66
	ds_read_b128 v[60:63], v19 offset:19712                    // 0000000078B8: D9FE4D00 3C000013
	v_mfma_f32_16x16x16_bf16 a[144:147], a[96:97], v[80:81], a[144:147]// 0000000078C0: D3E18090 0E42A160
	v_mfma_f32_16x16x16_bf16 a[148:151], a[98:99], v[80:81], a[148:151]// 0000000078C8: D3E18094 0E52A162
	ds_read_b128 v[64:67], v19 offset:20864                    // 0000000078D0: D9FE5180 40000013
	v_mfma_f32_16x16x16_bf16 a[152:155], a[100:101], v[80:81], a[152:155]// 0000000078D8: D3E18098 0E62A164
	v_mfma_f32_16x16x16_bf16 a[156:159], a[102:103], v[80:81], a[156:159]// 0000000078E0: D3E1809C 0E72A166
	ds_read_b128 v[68:71], v19 offset:22016                    // 0000000078E8: D9FE5600 44000013
	v_mfma_f32_16x16x16_bf16 a[112:115], a[104:105], v[82:83], a[112:115]// 0000000078F0: D3E18070 0DC2A568
	buffer_atomic_add_f32 v158, v6, s[32:35], 0 idxen offset:128// 0000000078F8: E1342080 80089E06
	v_mfma_f32_16x16x16_bf16 a[116:119], a[106:107], v[82:83], a[116:119]// 000000007900: D3E18074 0DD2A56A
	ds_read_b128 v[72:75], v19 offset:23168                    // 000000007908: D9FE5A80 48000013
	v_mfma_f32_16x16x16_bf16 a[120:123], a[108:109], v[82:83], a[120:123]// 000000007910: D3E18078 0DE2A56C
	v_mfma_f32_16x16x16_bf16 a[124:127], a[110:111], v[82:83], a[124:127]// 000000007918: D3E1807C 0DF2A56E
	ds_write_b32 v15, v104 offset:13056                        // 000000007920: D81A3300 0000680F
	v_mfma_f32_16x16x16_bf16 a[128:131], a[104:105], v[84:85], a[128:131]// 000000007928: D3E18080 0E02A968
	v_mfma_f32_16x16x16_bf16 a[132:135], a[106:107], v[84:85], a[132:135]// 000000007930: D3E18084 0E12A96A
	ds_write_b32 v15, v105 offset:14112                        // 000000007938: D81A3720 0000690F
	v_mfma_f32_16x16x16_bf16 a[136:139], a[108:109], v[84:85], a[136:139]// 000000007940: D3E18088 0E22A96C
	buffer_atomic_add_f32 v159, v7, s[32:35], 0 idxen offset:128// 000000007948: E1342080 80089F07
	v_mfma_f32_16x16x16_bf16 a[140:143], a[110:111], v[84:85], a[140:143]// 000000007950: D3E1808C 0E32A96E
	ds_write_b32 v15, v106 offset:15232                        // 000000007958: D81A3B80 00006A0F
	v_mfma_f32_16x16x16_bf16 a[144:147], a[104:105], v[86:87], a[144:147]// 000000007960: D3E18090 0E42AD68
	v_mfma_f32_16x16x16_bf16 a[148:151], a[106:107], v[86:87], a[148:151]// 000000007968: D3E18094 0E52AD6A
	ds_write_b32 v15, v107 offset:16288                        // 000000007970: D81A3FA0 00006B0F
	v_mfma_f32_16x16x16_bf16 a[152:155], a[108:109], v[86:87], a[152:155]// 000000007978: D3E18098 0E62AD6C
	v_mfma_f32_16x16x16_bf16 a[156:159], a[110:111], v[86:87], a[156:159]// 000000007980: D3E1809C 0E72AD6E
	s_waitcnt vmcnt(8) lgkmcnt(4)                              // 000000007988: BF8C0478
	s_barrier                                                  // 00000000798C: BF8A0000
	v_mfma_f32_16x16x16_bf16 v[148:151], v[52:53], a[24:25], 0 // 000000007990: D3E10094 12023134
	v_mul_f32_e32 v140, s48, v140                              // 000000007998: 0B191830
	v_mul_f32_e32 v144, s48, v144                              // 00000000799C: 0B212030
	s_nop 0                                                    // 0000000079A0: BF800000
	v_mfma_f32_16x16x16_bf16 v[148:151], v[54:55], a[28:29], v[148:151]// 0000000079A4: D3E10094 16523936
	ds_read_b128 a[96:99], v12                                 // 0000000079AC: DBFE0000 6000000C
	buffer_load_dword v36, v1, s[8:11], 0 idxen                // 0000000079B4: E0502000 80022401
	v_mfma_f32_16x16x16_bf16 v[148:151], v[56:57], a[32:33], v[148:151]// 0000000079BC: D3E10094 16524138
	v_mfma_f32_16x16x16_bf16 v[148:151], v[58:59], a[36:37], v[148:151]// 0000000079C4: D3E10094 1652493A
	ds_read_b128 a[100:103], v12 offset:512                    // 0000000079CC: DBFE0200 6400000C
	buffer_load_dword v37, v2, s[8:11], 0 idxen                // 0000000079D4: E0502000 80022502
	v_mfma_f32_16x16x16_bf16 v[148:151], v[60:61], a[40:41], v[148:151]// 0000000079DC: D3E10094 1652513C
	v_perm_b32 v100, v41, v40, s63                             // 0000000079E4: D1ED0064 00FE5129
	v_perm_b32 v101, v41, v40, s64                             // 0000000079EC: D1ED0065 01025129
	v_mfma_f32_16x16x16_bf16 v[148:151], v[62:63], a[44:45], v[148:151]// 0000000079F4: D3E10094 1652593E
	ds_read_b128 a[104:107], v12 offset:2176                   // 0000000079FC: DBFE0880 6800000C
	buffer_load_dword v38, v3, s[8:11], 0 idxen                // 000000007A04: E0502000 80022603
	v_mfma_f32_16x16x16_bf16 v[148:151], v[64:65], a[48:49], v[148:151]// 000000007A0C: D3E10094 16526140
	v_perm_b32 v102, v43, v42, s63                             // 000000007A14: D1ED0066 00FE552B
	v_perm_b32 v103, v43, v42, s64                             // 000000007A1C: D1ED0067 0102552B
	v_mfma_f32_16x16x16_bf16 v[148:151], v[66:67], a[52:53], v[148:151]// 000000007A24: D3E10094 16526942
	ds_read_b128 a[108:111], v12 offset:2688                   // 000000007A2C: DBFE0A80 6C00000C
	buffer_load_dword v39, v4, s[8:11], 0 idxen                // 000000007A34: E0502000 80022704
	v_mfma_f32_16x16x16_bf16 v[148:151], v[68:69], a[56:57], v[148:151]// 000000007A3C: D3E10094 16527144
	v_perm_b32 v104, v49, v48, s63                             // 000000007A44: D1ED0068 00FE6131
	v_perm_b32 v105, v49, v48, s64                             // 000000007A4C: D1ED0069 01026131
	v_mfma_f32_16x16x16_bf16 v[148:151], v[70:71], a[60:61], v[148:151]// 000000007A54: D3E10094 16527946
	ds_read_b128 v[108:111], v12 offset:8704                   // 000000007A5C: D9FE2200 6C00000C
	buffer_load_dword v44, v231, s[20:23], 0 idxen             // 000000007A64: E0502000 80052CE7
	v_mfma_f32_16x16x16_bf16 v[148:151], v[72:73], a[64:65], v[148:151]// 000000007A6C: D3E10094 16528148
	v_perm_b32 v106, v51, v50, s63                             // 000000007A74: D1ED006A 00FE6533
	v_perm_b32 v107, v51, v50, s64                             // 000000007A7C: D1ED006B 01026533
	v_mfma_f32_16x16x16_bf16 v[148:151], v[74:75], a[68:69], v[148:151]// 000000007A84: D3E10094 1652894A
	ds_read_b128 v[112:115], v12 offset:9216                   // 000000007A8C: D9FE2400 7000000C
	buffer_load_dword v45, v232, s[20:23], 0 idxen             // 000000007A94: E0502000 80052DE8
	v_mfma_f32_16x16x16_bf16 v[152:155], v[52:53], a[26:27], 0 // 000000007A9C: D3E10098 12023534
	v_mov_b32_dpp v143, v140 quad_perm:[3,3,3,3] row_mask:0xf bank_mask:0xf// 000000007AA4: 7F1E02FA FF00FF8C
	v_mov_b32_dpp v142, v140 quad_perm:[2,2,2,2] row_mask:0xf bank_mask:0xf// 000000007AAC: 7F1C02FA FF00AA8C
	v_mov_b32_dpp v141, v140 quad_perm:[1,1,1,1] row_mask:0xf bank_mask:0xf// 000000007AB4: 7F1A02FA FF00558C
	v_mov_b32_dpp v140, v140 quad_perm:[0,0,0,0] row_mask:0xf bank_mask:0xf// 000000007ABC: 7F1802FA FF00008C
	v_mfma_f32_16x16x16_bf16 v[152:155], v[54:55], a[30:31], v[152:155]// 000000007AC4: D3E10098 16623D36
	ds_read_b128 v[116:119], v12 offset:10880                  // 000000007ACC: D9FE2A80 7400000C
	buffer_load_dword v46, v233, s[20:23], 0 idxen             // 000000007AD4: E0502000 80052EE9
	v_mfma_f32_16x16x16_bf16 v[152:155], v[56:57], a[34:35], v[152:155]// 000000007ADC: D3E10098 16624538
	v_mov_b32_dpp v147, v144 quad_perm:[3,3,3,3] row_mask:0xf bank_mask:0xf// 000000007AE4: 7F2602FA FF00FF90
	v_mov_b32_dpp v146, v144 quad_perm:[2,2,2,2] row_mask:0xf bank_mask:0xf// 000000007AEC: 7F2402FA FF00AA90
	v_mov_b32_dpp v145, v144 quad_perm:[1,1,1,1] row_mask:0xf bank_mask:0xf// 000000007AF4: 7F2202FA FF005590
	v_mov_b32_dpp v144, v144 quad_perm:[0,0,0,0] row_mask:0xf bank_mask:0xf// 000000007AFC: 7F2002FA FF000090
	s_add_u32 s60, 0x80, s59                                   // 000000007B04: 803C3BFF 00000080
	v_mfma_f32_16x16x16_bf16 v[152:155], v[58:59], a[38:39], v[152:155]// 000000007B0C: D3E10098 16624D3A
	ds_read_b128 v[120:123], v12 offset:11392                  // 000000007B14: D9FE2C80 7800000C
	buffer_load_dword v47, v234, s[20:23], 0 idxen             // 000000007B1C: E0502000 80052FEA
	v_mfma_f32_16x16x16_bf16 v[152:155], v[60:61], a[42:43], v[152:155]// 000000007B24: D3E10098 1662553C
	s_cmp_lt_u32 s60, s58                                      // 000000007B2C: BF0A3A3C
	s_cselect_b32 s68, s68, 0                                  // 000000007B30: 85448044
	s_cselect_b32 s81, s81, 0                                  // 000000007B34: 85518051
	s_cselect_b32 s69, s69, 0                                  // 000000007B38: 85458045
	v_mfma_f32_16x16x16_bf16 v[152:155], v[62:63], a[46:47], v[152:155]// 000000007B3C: D3E10098 16625D3E
	buffer_load_dword v11, s[24:27], 0 idxen lds               // 000000007B44: E0512000 8006000B
	v_mfma_f32_16x16x16_bf16 v[152:155], v[64:65], a[50:51], v[152:155]// 000000007B4C: D3E10098 16626540
	v_add_u32_e32 v1, s68, v1                                  // 000000007B54: 68020244
	v_add_u32_e32 v2, s68, v2                                  // 000000007B58: 68040444
	v_add_u32_e32 v3, s68, v3                                  // 000000007B5C: 68060644
	v_add_u32_e32 v4, s68, v4                                  // 000000007B60: 68080844
	v_mfma_f32_16x16x16_bf16 v[152:155], v[66:67], a[54:55], v[152:155]// 000000007B64: D3E10098 16626D42
	v_add_u32_e32 v231, s81, v231                              // 000000007B6C: 69CFCE51
	v_add_u32_e32 v232, s81, v232                              // 000000007B70: 69D1D051
	v_add_u32_e32 v233, s81, v233                              // 000000007B74: 69D3D251
	v_add_u32_e32 v234, s81, v234                              // 000000007B78: 69D5D451
	v_mfma_f32_16x16x16_bf16 v[152:155], v[68:69], a[58:59], v[152:155]// 000000007B7C: D3E10098 16627544
	s_mov_b32 m0, s77                                          // 000000007B84: BEFC004D
	v_add_u32_e32 v11, s69, v11                                // 000000007B88: 68161645
	v_mfma_f32_16x16x16_bf16 v[152:155], v[70:71], a[62:63], v[152:155]// 000000007B8C: D3E10098 16627D46
	s_cmp_ge_u32 s59, 32                                       // 000000007B94: BF09A03B
	s_cselect_b32 s66, s67, s66                                // 000000007B98: 85424243
	v_mfma_f32_16x16x16_bf16 v[152:155], v[72:73], a[66:67], v[152:155]// 000000007B9C: D3E10098 16628548
	s_addk_i32 s59, 0x20                                       // 000000007BA4: B73B0020
	s_nop 0                                                    // 000000007BA8: BF800000
	s_cmp_lt_i32 s59, s58                                      // 000000007BAC: BF043A3B
	v_mfma_f32_16x16x16_bf16 v[152:155], v[74:75], a[70:71], v[152:155]// 000000007BB0: D3E10098 16628D4A
	s_cbranch_scc0 label_0F02                                  // 000000007BB8: BF840001
	s_branch label_062D                                        // 000000007BBC: BF82F73D

0000000000007bc0 <label_0F02>:
	s_nop 0                                                    // 000000007BC0: BF800000
	s_nop 0                                                    // 000000007BC4: BF800000
	s_branch label_17DA                                        // 000000007BC8: BF8208C3

0000000000007bcc <label_0F05>:
	s_waitcnt lgkmcnt(4)                                       // 000000007BCC: BF8CC47F
	s_barrier                                                  // 000000007BD0: BF8A0000
	v_mfma_f32_16x16x16_bf16 v[52:55], a[96:97], a[0:1], 0     // 000000007BD4: D3E10034 1A020160
	v_mul_f32_e32 v148, s47, v148                              // 000000007BDC: 0B29282F
	v_mul_f32_e32 v149, s47, v149                              // 000000007BE0: 0B2B2A2F
	v_mfma_f32_16x16x16_bf16 v[52:55], a[98:99], a[2:3], v[52:55]// 000000007BE4: D3E10034 1CD20562
	ds_write_b32 v13, v48 offset:8704                          // 000000007BEC: D81A2200 0000300D
	ds_write_b32 v13, v49 offset:9760                          // 000000007BF4: D81A2620 0000310D
	v_mfma_f32_16x16x16_bf16 v[52:55], a[100:101], a[4:5], v[52:55]// 000000007BFC: D3E10034 1CD20964
	v_mul_f32_e32 v150, s47, v150                              // 000000007C04: 0B2D2C2F
	v_mul_f32_e32 v151, s47, v151                              // 000000007C08: 0B2F2E2F
	v_mfma_f32_16x16x16_bf16 v[52:55], a[102:103], a[6:7], v[52:55]// 000000007C0C: D3E10034 1CD20D66
	ds_write_b32 v13, v50 offset:10880                         // 000000007C14: D81A2A80 0000320D
	ds_write_b32 v13, v51 offset:11936                         // 000000007C1C: D81A2EA0 0000330D
	v_mfma_f32_16x16x16_bf16 v[56:59], a[96:97], a[8:9], 0     // 000000007C24: D3E10038 1A021160
	v_mul_f32_e32 v152, s47, v152                              // 000000007C2C: 0B31302F
	v_mul_f32_e32 v153, s47, v153                              // 000000007C30: 0B33322F
	v_mfma_f32_16x16x16_bf16 v[56:59], a[98:99], a[10:11], v[56:59]// 000000007C34: D3E10038 1CE21562
	ds_write_b64 v22, v[148:149] offset:31232                  // 000000007C3C: D89A7A00 00009416
	v_mfma_f32_16x16x16_bf16 v[56:59], a[100:101], a[12:13], v[56:59]// 000000007C44: D3E10038 1CE21964
	v_mul_f32_e32 v154, s47, v154                              // 000000007C4C: 0B35342F
	v_mul_f32_e32 v155, s47, v155                              // 000000007C50: 0B37362F
	v_mfma_f32_16x16x16_bf16 v[56:59], a[102:103], a[14:15], v[56:59]// 000000007C54: D3E10038 1CE21D66
	ds_write_b64 v22, v[150:151] offset:31744                  // 000000007C5C: D89A7C00 00009616
	v_mfma_f32_16x16x16_bf16 v[60:63], a[96:97], a[16:17], 0   // 000000007C64: D3E1003C 1A022160
	buffer_atomic_add_f32 v160, v8, s[32:35], 0 idxen          // 000000007C6C: E1342000 8008A008
	v_mfma_f32_16x16x16_bf16 v[60:63], a[98:99], a[18:19], v[60:63]// 000000007C74: D3E1003C 1CF22562
	ds_write_b64 v22, v[152:153] offset:32256                  // 000000007C7C: D89A7E00 00009816
	v_mfma_f32_16x16x16_bf16 v[60:63], a[100:101], a[20:21], v[60:63]// 000000007C84: D3E1003C 1CF22964
	v_mfma_f32_16x16x16_bf16 v[60:63], a[102:103], a[22:23], v[60:63]// 000000007C8C: D3E1003C 1CF22D66
	ds_write_b64 v22, v[154:155] offset:32768                  // 000000007C94: D89A8000 00009A16
	v_mfma_f32_16x16x16_bf16 v[64:67], a[104:105], a[0:1], 0   // 000000007C9C: D3E10040 1A020168
	buffer_atomic_add_f32 v161, v9, s[32:35], 0 idxen          // 000000007CA4: E1342000 8008A109
	v_mfma_f32_16x16x16_bf16 v[64:67], a[106:107], a[2:3], v[64:67]// 000000007CAC: D3E10040 1D02056A
	ds_read_b128 v[124:127], v14 offset:13056                  // 000000007CB4: D9FE3300 7C00000E
	ds_write_b32 v13, v40                                      // 000000007CBC: D81A0000 0000280D
	v_mfma_f32_16x16x16_bf16 v[64:67], a[108:109], a[4:5], v[64:67]// 000000007CC4: D3E10040 1D02096C
	v_mfma_f32_16x16x16_bf16 v[64:67], a[110:111], a[6:7], v[64:67]// 000000007CCC: D3E10040 1D020D6E
	v_mfma_f32_16x16x16_bf16 v[68:71], a[104:105], a[8:9], 0   // 000000007CD4: D3E10044 1A021168
	ds_read_b128 v[128:131], v14 offset:13568                  // 000000007CDC: D9FE3500 8000000E
	ds_write_b32 v13, v41 offset:1056                          // 000000007CE4: D81A0420 0000290D
	v_mfma_f32_16x16x16_bf16 v[68:71], a[106:107], a[10:11], v[68:71]// 000000007CEC: D3E10044 1D12156A
	buffer_atomic_add_f32 v162, v8, s[32:35], 0 idxen offset:128// 000000007CF4: E1342080 8008A208
	v_mfma_f32_16x16x16_bf16 v[68:71], a[108:109], a[12:13], v[68:71]// 000000007CFC: D3E10044 1D12196C
	v_mfma_f32_16x16x16_bf16 v[68:71], a[110:111], a[14:15], v[68:71]// 000000007D04: D3E10044 1D121D6E
	ds_read_b128 v[132:135], v14 offset:15232                  // 000000007D0C: D9FE3B80 8400000E
	ds_write_b32 v13, v42 offset:2176                          // 000000007D14: D81A0880 00002A0D
	v_mfma_f32_16x16x16_bf16 v[72:75], a[104:105], a[16:17], 0 // 000000007D1C: D3E10048 1A022168
	v_mfma_f32_16x16x16_bf16 v[72:75], a[106:107], a[18:19], v[72:75]// 000000007D24: D3E10048 1D22256A
	buffer_atomic_add_f32 v163, v9, s[32:35], 0 idxen offset:128// 000000007D2C: E1342080 8008A309
	v_mfma_f32_16x16x16_bf16 v[72:75], a[108:109], a[20:21], v[72:75]// 000000007D34: D3E10048 1D22296C
	ds_read_b128 v[136:139], v14 offset:15744                  // 000000007D3C: D9FE3D80 8800000E
	ds_write_b32 v13, v43 offset:3232                          // 000000007D44: D81A0CA0 00002B0D
	v_mfma_f32_16x16x16_bf16 v[72:75], a[110:111], a[22:23], v[72:75]// 000000007D4C: D3E10048 1D222D6E
	s_cmp_lt_i32 s83, 0xc0                                     // 000000007D54: BF04FF53 000000C0
	s_cbranch_scc0 label_0FE0                                  // 000000007D5C: BF84006D
	s_cmp_le_i32 s83, 64                                       // 000000007D60: BF05C053
	s_cbranch_scc1 label_0F73                                  // 000000007D64: BF850007
	s_cmp_le_i32 s83, 0x80                                     // 000000007D68: BF05FF53 00000080
	s_cbranch_scc1 label_0F97                                  // 000000007D70: BF85001F
	s_cmp_lt_i32 s83, 0xc0                                     // 000000007D74: BF04FF53 000000C0
	s_cbranch_scc1 label_0FBB                                  // 000000007D7C: BF850040
	s_branch label_0FE0                                        // 000000007D80: BF820064

0000000000007d84 <label_0F73>:
	s_mov_b32 s60, 0                                           // 000000007D84: BEBC0080
	v_and_b32_e32 v32, 15, v0                                  // 000000007D88: 2640008F
	v_add_u32_e64 v32, v32, s60                                // 000000007D8C: D1340020 00007920
	v_mul_i32_i24_e64 v33, s46, 16                             // 000000007D94: D1060021 0001202E
	v_add_u32_e32 v32, v32, v33                                // 000000007D9C: 68404320
	v_cmp_lt_u32_e64 s[60:61], v32, s83                        // 000000007DA0: D0C9003C 0000A720
	s_nop 1                                                    // 000000007DA8: BF800001
	v_cndmask_b32_e64 v52, v230, v52, s[60:61]                 // 000000007DAC: D1000034 00F269E6
	v_cndmask_b32_e64 v64, v230, v64, s[60:61]                 // 000000007DB4: D1000040 00F281E6
	v_cndmask_b32_e64 v53, v230, v53, s[60:61]                 // 000000007DBC: D1000035 00F26BE6
	v_cndmask_b32_e64 v65, v230, v65, s[60:61]                 // 000000007DC4: D1000041 00F283E6
	v_cndmask_b32_e64 v54, v230, v54, s[60:61]                 // 000000007DCC: D1000036 00F26DE6
	v_cndmask_b32_e64 v66, v230, v66, s[60:61]                 // 000000007DD4: D1000042 00F285E6
	v_cndmask_b32_e64 v55, v230, v55, s[60:61]                 // 000000007DDC: D1000037 00F26FE6
	v_cndmask_b32_e64 v67, v230, v67, s[60:61]                 // 000000007DE4: D1000043 00F287E6
	s_branch label_0FB2                                        // 000000007DEC: BF82001B

0000000000007df0 <label_0F97>:
	s_mov_b32 s60, 64                                          // 000000007DF0: BEBC00C0
	v_and_b32_e32 v32, 15, v0                                  // 000000007DF4: 2640008F
	v_add_u32_e64 v32, v32, s60                                // 000000007DF8: D1340020 00007920
	v_mul_i32_i24_e64 v33, s46, 16                             // 000000007E00: D1060021 0001202E
	v_add_u32_e32 v32, v32, v33                                // 000000007E08: 68404320
	v_cmp_lt_u32_e64 s[60:61], v32, s83                        // 000000007E0C: D0C9003C 0000A720
	s_nop 1                                                    // 000000007E14: BF800001
	v_cndmask_b32_e64 v56, v230, v56, s[60:61]                 // 000000007E18: D1000038 00F271E6
	v_cndmask_b32_e64 v68, v230, v68, s[60:61]                 // 000000007E20: D1000044 00F289E6
	v_cndmask_b32_e64 v57, v230, v57, s[60:61]                 // 000000007E28: D1000039 00F273E6
	v_cndmask_b32_e64 v69, v230, v69, s[60:61]                 // 000000007E30: D1000045 00F28BE6
	v_cndmask_b32_e64 v58, v230, v58, s[60:61]                 // 000000007E38: D100003A 00F275E6
	v_cndmask_b32_e64 v70, v230, v70, s[60:61]                 // 000000007E40: D1000046 00F28DE6
	v_cndmask_b32_e64 v59, v230, v59, s[60:61]                 // 000000007E48: D100003B 00F277E6
	v_cndmask_b32_e64 v71, v230, v71, s[60:61]                 // 000000007E50: D1000047 00F28FE6
	s_branch label_0FD7                                        // 000000007E58: BF820025

0000000000007e5c <label_0FB2>:
	v_mov_b32_e32 v56, v230                                    // 000000007E5C: 7E7003E6
	v_mov_b32_e32 v68, v230                                    // 000000007E60: 7E8803E6
	v_mov_b32_e32 v57, v230                                    // 000000007E64: 7E7203E6
	v_mov_b32_e32 v69, v230                                    // 000000007E68: 7E8A03E6
	v_mov_b32_e32 v58, v230                                    // 000000007E6C: 7E7403E6
	v_mov_b32_e32 v70, v230                                    // 000000007E70: 7E8C03E6
	v_mov_b32_e32 v59, v230                                    // 000000007E74: 7E7603E6
	v_mov_b32_e32 v71, v230                                    // 000000007E78: 7E8E03E6
	s_branch label_0FD7                                        // 000000007E7C: BF82001C

0000000000007e80 <label_0FBB>:
	s_mov_b32 s60, 0x80                                        // 000000007E80: BEBC00FF 00000080
	v_and_b32_e32 v32, 15, v0                                  // 000000007E88: 2640008F
	v_add_u32_e64 v32, v32, s60                                // 000000007E8C: D1340020 00007920
	v_mul_i32_i24_e64 v33, s46, 16                             // 000000007E94: D1060021 0001202E
	v_add_u32_e32 v32, v32, v33                                // 000000007E9C: 68404320
	v_cmp_lt_u32_e64 s[60:61], v32, s83                        // 000000007EA0: D0C9003C 0000A720
	s_nop 1                                                    // 000000007EA8: BF800001
	v_cndmask_b32_e64 v60, v230, v60, s[60:61]                 // 000000007EAC: D100003C 00F279E6
	v_cndmask_b32_e64 v72, v230, v72, s[60:61]                 // 000000007EB4: D1000048 00F291E6
	v_cndmask_b32_e64 v61, v230, v61, s[60:61]                 // 000000007EBC: D100003D 00F27BE6
	v_cndmask_b32_e64 v73, v230, v73, s[60:61]                 // 000000007EC4: D1000049 00F293E6
	v_cndmask_b32_e64 v62, v230, v62, s[60:61]                 // 000000007ECC: D100003E 00F27DE6
	v_cndmask_b32_e64 v74, v230, v74, s[60:61]                 // 000000007ED4: D100004A 00F295E6
	v_cndmask_b32_e64 v63, v230, v63, s[60:61]                 // 000000007EDC: D100003F 00F27FE6
	v_cndmask_b32_e64 v75, v230, v75, s[60:61]                 // 000000007EE4: D100004B 00F297E6
	s_branch label_0FE0                                        // 000000007EEC: BF820009

0000000000007ef0 <label_0FD7>:
	v_mov_b32_e32 v60, v230                                    // 000000007EF0: 7E7803E6
	v_mov_b32_e32 v72, v230                                    // 000000007EF4: 7E9003E6
	v_mov_b32_e32 v61, v230                                    // 000000007EF8: 7E7A03E6
	v_mov_b32_e32 v73, v230                                    // 000000007EFC: 7E9203E6
	v_mov_b32_e32 v62, v230                                    // 000000007F00: 7E7C03E6
	v_mov_b32_e32 v74, v230                                    // 000000007F04: 7E9403E6
	v_mov_b32_e32 v63, v230                                    // 000000007F08: 7E7E03E6
	v_mov_b32_e32 v75, v230                                    // 000000007F0C: 7E9603E6
	s_branch label_0FE0                                        // 000000007F10: BF820000

0000000000007f14 <label_0FE0>:
	s_waitcnt lgkmcnt(8)                                       // 000000007F14: BF8CC87F
	s_barrier                                                  // 000000007F18: BF8A0000
	v_mfma_f32_16x16x16_bf16 v[76:79], v[108:109], a[72:73], 0 // 000000007F1C: D3E1004C 1202916C
	v_fma_f32 v52, v52, s57, -v140                             // 000000007F24: D1CB0034 86307334
	v_fma_f32 v53, v53, s57, -v141                             // 000000007F2C: D1CB0035 86347335
	v_fma_f32 v54, v54, s57, -v142                             // 000000007F34: D1CB0036 86387336
	v_fma_f32 v55, v55, s57, -v143                             // 000000007F3C: D1CB0037 863C7337
	v_fma_f32 v56, v56, s57, -v140                             // 000000007F44: D1CB0038 86307338
	v_fma_f32 v57, v57, s57, -v141                             // 000000007F4C: D1CB0039 86347339
	v_mfma_f32_16x16x16_bf16 v[76:79], v[110:111], a[74:75], v[76:79]// 000000007F54: D3E1004C 1532956E
	ds_read_b128 a[96:99], v14 offset:4352                     // 000000007F5C: DBFE1100 6000000E
	ds_read_b128 a[100:103], v14 offset:4864                   // 000000007F64: DBFE1300 6400000E
	v_mfma_f32_16x16x16_bf16 v[76:79], v[112:113], a[76:77], v[76:79]// 000000007F6C: D3E1004C 15329970
	v_fma_f32 v58, v58, s57, -v142                             // 000000007F74: D1CB003A 8638733A
	v_fma_f32 v59, v59, s57, -v143                             // 000000007F7C: D1CB003B 863C733B
	v_fma_f32 v60, v60, s57, -v140                             // 000000007F84: D1CB003C 8630733C
	v_fma_f32 v61, v61, s57, -v141                             // 000000007F8C: D1CB003D 8634733D
	v_fma_f32 v62, v62, s57, -v142                             // 000000007F94: D1CB003E 8638733E
	v_fma_f32 v63, v63, s57, -v143                             // 000000007F9C: D1CB003F 863C733F
	v_mfma_f32_16x16x16_bf16 v[76:79], v[114:115], a[78:79], v[76:79]// 000000007FA4: D3E1004C 15329D72
	v_fma_f32 v64, v64, s57, -v144                             // 000000007FAC: D1CB0040 86407340
	v_fma_f32 v65, v65, s57, -v145                             // 000000007FB4: D1CB0041 86447341
	v_fma_f32 v66, v66, s57, -v146                             // 000000007FBC: D1CB0042 86487342
	v_fma_f32 v67, v67, s57, -v147                             // 000000007FC4: D1CB0043 864C7343
	v_fma_f32 v68, v68, s57, -v144                             // 000000007FCC: D1CB0044 86407344
	v_fma_f32 v69, v69, s57, -v145                             // 000000007FD4: D1CB0045 86447345
	v_mfma_f32_16x16x16_bf16 v[80:83], v[108:109], a[80:81], 0 // 000000007FDC: D3E10050 1202A16C
	v_fma_f32 v70, v70, s57, -v146                             // 000000007FE4: D1CB0046 86487346
	v_fma_f32 v71, v71, s57, -v147                             // 000000007FEC: D1CB0047 864C7347
	v_fma_f32 v72, v72, s57, -v144                             // 000000007FF4: D1CB0048 86407348
	v_fma_f32 v73, v73, s57, -v145                             // 000000007FFC: D1CB0049 86447349
	v_fma_f32 v74, v74, s57, -v146                             // 000000008004: D1CB004A 8648734A
	v_fma_f32 v75, v75, s57, -v147                             // 00000000800C: D1CB004B 864C734B
	v_mfma_f32_16x16x16_bf16 v[80:83], v[110:111], a[82:83], v[80:83]// 000000008014: D3E10050 1542A56E
	ds_read_b128 a[104:107], v14 offset:6528                   // 00000000801C: DBFE1980 6800000E
	ds_read_b128 a[108:111], v14 offset:7040                   // 000000008024: DBFE1B80 6C00000E
	v_mfma_f32_16x16x16_bf16 v[80:83], v[112:113], a[84:85], v[80:83]// 00000000802C: D3E10050 1542A970
	v_exp_f32_e32 v52, v52                                     // 000000008034: 7E684134
	v_exp_f32_e32 v53, v53                                     // 000000008038: 7E6A4135
	v_mfma_f32_16x16x16_bf16 v[80:83], v[114:115], a[86:87], v[80:83]// 00000000803C: D3E10050 1542AD72
	v_exp_f32_e32 v54, v54                                     // 000000008044: 7E6C4136
	v_exp_f32_e32 v55, v55                                     // 000000008048: 7E6E4137
	v_mfma_f32_16x16x16_bf16 v[84:87], v[108:109], a[88:89], 0 // 00000000804C: D3E10054 1202B16C
	v_exp_f32_e32 v56, v56                                     // 000000008054: 7E704138
	v_exp_f32_e32 v57, v57                                     // 000000008058: 7E724139
	v_mfma_f32_16x16x16_bf16 v[84:87], v[110:111], a[90:91], v[84:87]// 00000000805C: D3E10054 1552B56E
	ds_read_b64 v[156:157], v21 offset:31232                   // 000000008064: D8EC7A00 9C000015
	ds_read_b64 v[158:159], v21 offset:33280                   // 00000000806C: D8EC8200 9E000015
	v_mfma_f32_16x16x16_bf16 v[84:87], v[112:113], a[92:93], v[84:87]// 000000008074: D3E10054 1552B970
	v_exp_f32_e32 v58, v58                                     // 00000000807C: 7E74413A
	v_exp_f32_e32 v59, v59                                     // 000000008080: 7E76413B
	v_mfma_f32_16x16x16_bf16 v[84:87], v[114:115], a[94:95], v[84:87]// 000000008084: D3E10054 1552BD72
	ds_read_b64 v[160:161], v21 offset:35328                   // 00000000808C: D8EC8A00 A0000015
	ds_read_b64 v[162:163], v21 offset:37376                   // 000000008094: D8EC9200 A2000015
	v_mfma_f32_16x16x16_bf16 v[88:91], v[116:117], a[72:73], 0 // 00000000809C: D3E10058 12029174
	v_exp_f32_e32 v60, v60                                     // 0000000080A4: 7E78413C
	v_exp_f32_e32 v61, v61                                     // 0000000080A8: 7E7A413D
	v_mfma_f32_16x16x16_bf16 v[88:91], v[118:119], a[74:75], v[88:91]// 0000000080AC: D3E10058 15629576
	v_exp_f32_e32 v62, v62                                     // 0000000080B4: 7E7C413E
	v_exp_f32_e32 v63, v63                                     // 0000000080B8: 7E7E413F
	v_mfma_f32_16x16x16_bf16 v[88:91], v[120:121], a[76:77], v[88:91]// 0000000080BC: D3E10058 15629978
	v_exp_f32_e32 v64, v64                                     // 0000000080C4: 7E804140
	v_exp_f32_e32 v65, v65                                     // 0000000080C8: 7E824141
	v_mfma_f32_16x16x16_bf16 v[88:91], v[122:123], a[78:79], v[88:91]// 0000000080CC: D3E10058 15629D7A
	v_exp_f32_e32 v66, v66                                     // 0000000080D4: 7E844142
	v_exp_f32_e32 v67, v67                                     // 0000000080D8: 7E864143
	v_mfma_f32_16x16x16_bf16 v[92:95], v[116:117], a[80:81], 0 // 0000000080DC: D3E1005C 1202A174
	v_exp_f32_e32 v68, v68                                     // 0000000080E4: 7E884144
	v_exp_f32_e32 v69, v69                                     // 0000000080E8: 7E8A4145
	v_mfma_f32_16x16x16_bf16 v[92:95], v[118:119], a[82:83], v[92:95]// 0000000080EC: D3E1005C 1572A576
	v_exp_f32_e32 v70, v70                                     // 0000000080F4: 7E8C4146
	v_exp_f32_e32 v71, v71                                     // 0000000080F8: 7E8E4147
	v_mfma_f32_16x16x16_bf16 v[92:95], v[120:121], a[84:85], v[92:95]// 0000000080FC: D3E1005C 1572A978
	v_exp_f32_e32 v72, v72                                     // 000000008104: 7E904148
	v_exp_f32_e32 v73, v73                                     // 000000008108: 7E924149
	v_mfma_f32_16x16x16_bf16 v[92:95], v[122:123], a[86:87], v[92:95]// 00000000810C: D3E1005C 1572AD7A
	v_exp_f32_e32 v74, v74                                     // 000000008114: 7E94414A
	v_exp_f32_e32 v75, v75                                     // 000000008118: 7E96414B
	v_mfma_f32_16x16x16_bf16 v[96:99], v[116:117], a[88:89], 0 // 00000000811C: D3E10060 1202B174
	v_cmp_u_f32_e64 s[74:75], v52, v52                         // 000000008124: D048004A 00026934
	v_add3_u32 v226, v52, v229, 1                              // 00000000812C: D1FF00E2 0207CB34
	v_cndmask_b32_e64 v32, v226, v228, s[74:75]                // 000000008134: D1000020 012BC9E2
	v_cmp_u_f32_e64 s[74:75], v53, v53                         // 00000000813C: D048004A 00026B35
	v_add3_u32 v226, v53, v229, 1                              // 000000008144: D1FF00E2 0207CB35
	v_cndmask_b32_e64 v33, v226, v228, s[74:75]                // 00000000814C: D1000021 012BC9E2
	v_perm_b32 v164, v33, v32, s64                             // 000000008154: D1ED00A4 01024121
	v_cmp_u_f32_e64 s[74:75], v54, v54                         // 00000000815C: D048004A 00026D36
	v_add3_u32 v226, v54, v229, 1                              // 000000008164: D1FF00E2 0207CB36
	v_cndmask_b32_e64 v32, v226, v228, s[74:75]                // 00000000816C: D1000020 012BC9E2
	v_cmp_u_f32_e64 s[74:75], v55, v55                         // 000000008174: D048004A 00026F37
	v_add3_u32 v226, v55, v229, 1                              // 00000000817C: D1FF00E2 0207CB37
	v_cndmask_b32_e64 v33, v226, v228, s[74:75]                // 000000008184: D1000021 012BC9E2
	v_perm_b32 v165, v33, v32, s64                             // 00000000818C: D1ED00A5 01024121
	v_cmp_u_f32_e64 s[74:75], v56, v56                         // 000000008194: D048004A 00027138
	v_add3_u32 v226, v56, v229, 1                              // 00000000819C: D1FF00E2 0207CB38
	v_cndmask_b32_e64 v32, v226, v228, s[74:75]                // 0000000081A4: D1000020 012BC9E2
	v_cmp_u_f32_e64 s[74:75], v57, v57                         // 0000000081AC: D048004A 00027339
	v_add3_u32 v226, v57, v229, 1                              // 0000000081B4: D1FF00E2 0207CB39
	v_cndmask_b32_e64 v33, v226, v228, s[74:75]                // 0000000081BC: D1000021 012BC9E2
	v_perm_b32 v166, v33, v32, s64                             // 0000000081C4: D1ED00A6 01024121
	v_cmp_u_f32_e64 s[74:75], v58, v58                         // 0000000081CC: D048004A 0002753A
	v_add3_u32 v226, v58, v229, 1                              // 0000000081D4: D1FF00E2 0207CB3A
	v_cndmask_b32_e64 v32, v226, v228, s[74:75]                // 0000000081DC: D1000020 012BC9E2
	v_cmp_u_f32_e64 s[74:75], v59, v59                         // 0000000081E4: D048004A 0002773B
	v_add3_u32 v226, v59, v229, 1                              // 0000000081EC: D1FF00E2 0207CB3B
	v_cndmask_b32_e64 v33, v226, v228, s[74:75]                // 0000000081F4: D1000021 012BC9E2
	v_perm_b32 v167, v33, v32, s64                             // 0000000081FC: D1ED00A7 01024121
	v_cmp_u_f32_e64 s[74:75], v60, v60                         // 000000008204: D048004A 0002793C
	v_add3_u32 v226, v60, v229, 1                              // 00000000820C: D1FF00E2 0207CB3C
	v_cndmask_b32_e64 v32, v226, v228, s[74:75]                // 000000008214: D1000020 012BC9E2
	v_cmp_u_f32_e64 s[74:75], v61, v61                         // 00000000821C: D048004A 00027B3D
	v_add3_u32 v226, v61, v229, 1                              // 000000008224: D1FF00E2 0207CB3D
	v_cndmask_b32_e64 v33, v226, v228, s[74:75]                // 00000000822C: D1000021 012BC9E2
	v_perm_b32 v168, v33, v32, s64                             // 000000008234: D1ED00A8 01024121
	v_cmp_u_f32_e64 s[74:75], v62, v62                         // 00000000823C: D048004A 00027D3E
	v_add3_u32 v226, v62, v229, 1                              // 000000008244: D1FF00E2 0207CB3E
	v_cndmask_b32_e64 v32, v226, v228, s[74:75]                // 00000000824C: D1000020 012BC9E2
	v_cmp_u_f32_e64 s[74:75], v63, v63                         // 000000008254: D048004A 00027F3F
	v_add3_u32 v226, v63, v229, 1                              // 00000000825C: D1FF00E2 0207CB3F
	v_cndmask_b32_e64 v33, v226, v228, s[74:75]                // 000000008264: D1000021 012BC9E2
	v_perm_b32 v169, v33, v32, s64                             // 00000000826C: D1ED00A9 01024121
	v_mfma_f32_16x16x16_bf16 v[96:99], v[118:119], a[90:91], v[96:99]// 000000008274: D3E10060 1582B576
	v_cmp_u_f32_e64 s[74:75], v64, v64                         // 00000000827C: D048004A 00028140
	v_add3_u32 v226, v64, v229, 1                              // 000000008284: D1FF00E2 0207CB40
	v_cndmask_b32_e64 v32, v226, v228, s[74:75]                // 00000000828C: D1000020 012BC9E2
	v_cmp_u_f32_e64 s[74:75], v65, v65                         // 000000008294: D048004A 00028341
	v_add3_u32 v226, v65, v229, 1                              // 00000000829C: D1FF00E2 0207CB41
	v_cndmask_b32_e64 v33, v226, v228, s[74:75]                // 0000000082A4: D1000021 012BC9E2
	v_perm_b32 v170, v33, v32, s64                             // 0000000082AC: D1ED00AA 01024121
	v_cmp_u_f32_e64 s[74:75], v66, v66                         // 0000000082B4: D048004A 00028542
	v_add3_u32 v226, v66, v229, 1                              // 0000000082BC: D1FF00E2 0207CB42
	v_cndmask_b32_e64 v32, v226, v228, s[74:75]                // 0000000082C4: D1000020 012BC9E2
	v_cmp_u_f32_e64 s[74:75], v67, v67                         // 0000000082CC: D048004A 00028743
	v_add3_u32 v226, v67, v229, 1                              // 0000000082D4: D1FF00E2 0207CB43
	v_cndmask_b32_e64 v33, v226, v228, s[74:75]                // 0000000082DC: D1000021 012BC9E2
	v_perm_b32 v171, v33, v32, s64                             // 0000000082E4: D1ED00AB 01024121
	v_cmp_u_f32_e64 s[74:75], v68, v68                         // 0000000082EC: D048004A 00028944
	v_add3_u32 v226, v68, v229, 1                              // 0000000082F4: D1FF00E2 0207CB44
	v_cndmask_b32_e64 v32, v226, v228, s[74:75]                // 0000000082FC: D1000020 012BC9E2
	v_cmp_u_f32_e64 s[74:75], v69, v69                         // 000000008304: D048004A 00028B45
	v_add3_u32 v226, v69, v229, 1                              // 00000000830C: D1FF00E2 0207CB45
	v_cndmask_b32_e64 v33, v226, v228, s[74:75]                // 000000008314: D1000021 012BC9E2
	v_perm_b32 v172, v33, v32, s64                             // 00000000831C: D1ED00AC 01024121
	v_cmp_u_f32_e64 s[74:75], v70, v70                         // 000000008324: D048004A 00028D46
	v_add3_u32 v226, v70, v229, 1                              // 00000000832C: D1FF00E2 0207CB46
	v_cndmask_b32_e64 v32, v226, v228, s[74:75]                // 000000008334: D1000020 012BC9E2
	v_cmp_u_f32_e64 s[74:75], v71, v71                         // 00000000833C: D048004A 00028F47
	v_add3_u32 v226, v71, v229, 1                              // 000000008344: D1FF00E2 0207CB47
	v_cndmask_b32_e64 v33, v226, v228, s[74:75]                // 00000000834C: D1000021 012BC9E2
	v_perm_b32 v173, v33, v32, s64                             // 000000008354: D1ED00AD 01024121
	v_cmp_u_f32_e64 s[74:75], v72, v72                         // 00000000835C: D048004A 00029148
	v_add3_u32 v226, v72, v229, 1                              // 000000008364: D1FF00E2 0207CB48
	v_cndmask_b32_e64 v32, v226, v228, s[74:75]                // 00000000836C: D1000020 012BC9E2
	v_cmp_u_f32_e64 s[74:75], v73, v73                         // 000000008374: D048004A 00029349
	v_add3_u32 v226, v73, v229, 1                              // 00000000837C: D1FF00E2 0207CB49
	v_cndmask_b32_e64 v33, v226, v228, s[74:75]                // 000000008384: D1000021 012BC9E2
	v_perm_b32 v174, v33, v32, s64                             // 00000000838C: D1ED00AE 01024121
	v_cmp_u_f32_e64 s[74:75], v74, v74                         // 000000008394: D048004A 0002954A
	v_add3_u32 v226, v74, v229, 1                              // 00000000839C: D1FF00E2 0207CB4A
	v_cndmask_b32_e64 v32, v226, v228, s[74:75]                // 0000000083A4: D1000020 012BC9E2
	v_cmp_u_f32_e64 s[74:75], v75, v75                         // 0000000083AC: D048004A 0002974B
	v_add3_u32 v226, v75, v229, 1                              // 0000000083B4: D1FF00E2 0207CB4B
	v_cndmask_b32_e64 v33, v226, v228, s[74:75]                // 0000000083BC: D1000021 012BC9E2
	v_perm_b32 v175, v33, v32, s64                             // 0000000083C4: D1ED00AF 01024121
	v_mfma_f32_16x16x16_bf16 v[96:99], v[120:121], a[92:93], v[96:99]// 0000000083CC: D3E10060 1582B978
	v_add_u32_e32 v6, s66, v6                                  // 0000000083D4: 680C0C42
	v_add_u32_e32 v7, s66, v7                                  // 0000000083D8: 680E0E42
	v_add_u32_e32 v8, s66, v8                                  // 0000000083DC: 68101042
	v_add_u32_e32 v9, s66, v9                                  // 0000000083E0: 68121242
	v_mfma_f32_16x16x16_bf16 v[96:99], v[122:123], a[94:95], v[96:99]// 0000000083E4: D3E10060 1582BD7A
	s_waitcnt lgkmcnt(0)                                       // 0000000083EC: BF8CC07F
	s_barrier                                                  // 0000000083F0: BF8A0000
	v_mfma_f32_16x16x16_bf16 v[178:181], v[124:125], v[164:165], v[178:181]// 0000000083F4: D3E100B2 06CB497C
	v_subrev_f32_dpp v76, v176, v76 quad_perm:[0,0,0,0] row_mask:0xf bank_mask:0xf// 0000000083FC: 069898FA FF0000B0
	v_subrev_f32_dpp v77, v176, v77 quad_perm:[1,1,1,1] row_mask:0xf bank_mask:0xf// 000000008404: 069A9AFA FF0055B0
	v_subrev_f32_dpp v78, v176, v78 quad_perm:[2,2,2,2] row_mask:0xf bank_mask:0xf// 00000000840C: 069C9CFA FF00AAB0
	v_subrev_f32_dpp v79, v176, v79 quad_perm:[3,3,3,3] row_mask:0xf bank_mask:0xf// 000000008414: 069E9EFA FF00FFB0
	v_subrev_f32_dpp v80, v176, v80 quad_perm:[0,0,0,0] row_mask:0xf bank_mask:0xf// 00000000841C: 06A0A0FA FF0000B0
	v_subrev_f32_dpp v81, v176, v81 quad_perm:[1,1,1,1] row_mask:0xf bank_mask:0xf// 000000008424: 06A2A2FA FF0055B0
	v_mfma_f32_16x16x16_bf16 v[182:185], v[126:127], v[164:165], v[182:185]// 00000000842C: D3E100B6 06DB497E
	v_subrev_f32_dpp v82, v176, v82 quad_perm:[2,2,2,2] row_mask:0xf bank_mask:0xf// 000000008434: 06A4A4FA FF00AAB0
	v_subrev_f32_dpp v83, v176, v83 quad_perm:[3,3,3,3] row_mask:0xf bank_mask:0xf// 00000000843C: 06A6A6FA FF00FFB0
	v_subrev_f32_dpp v84, v176, v84 quad_perm:[0,0,0,0] row_mask:0xf bank_mask:0xf// 000000008444: 06A8A8FA FF0000B0
	v_subrev_f32_dpp v85, v176, v85 quad_perm:[1,1,1,1] row_mask:0xf bank_mask:0xf// 00000000844C: 06AAAAFA FF0055B0
	v_subrev_f32_dpp v86, v176, v86 quad_perm:[2,2,2,2] row_mask:0xf bank_mask:0xf// 000000008454: 06ACACFA FF00AAB0
	v_subrev_f32_dpp v87, v176, v87 quad_perm:[3,3,3,3] row_mask:0xf bank_mask:0xf// 00000000845C: 06AEAEFA FF00FFB0
	v_mfma_f32_16x16x16_bf16 v[186:189], v[128:129], v[164:165], v[186:189]// 000000008464: D3E100BA 06EB4980
	v_mul_f32_e32 v76, v52, v76                                // 00000000846C: 0A989934
	v_mul_f32_e32 v77, v53, v77                                // 000000008470: 0A9A9B35
	v_mul_f32_e32 v78, v54, v78                                // 000000008474: 0A9C9D36
	v_mul_f32_e32 v79, v55, v79                                // 000000008478: 0A9E9F37
	v_mul_f32_e32 v80, v56, v80                                // 00000000847C: 0AA0A138
	v_mul_f32_e32 v81, v57, v81                                // 000000008480: 0AA2A339
	v_mfma_f32_16x16x16_bf16 v[190:193], v[130:131], v[164:165], v[190:193]// 000000008484: D3E100BE 06FB4982
	v_mul_f32_e32 v82, v58, v82                                // 00000000848C: 0AA4A53A
	v_mul_f32_e32 v83, v59, v83                                // 000000008490: 0AA6A73B
	v_mul_f32_e32 v84, v60, v84                                // 000000008494: 0AA8A93C
	v_mul_f32_e32 v85, v61, v85                                // 000000008498: 0AAAAB3D
	v_mul_f32_e32 v86, v62, v86                                // 00000000849C: 0AACAD3E
	v_mul_f32_e32 v87, v63, v87                                // 0000000084A0: 0AAEAF3F
	v_mfma_f32_16x16x16_bf16 v[194:197], v[124:125], v[166:167], v[194:197]// 0000000084A4: D3E100C2 070B4D7C
	v_cmp_u_f32_e64 s[74:75], v76, v76                         // 0000000084AC: D048004A 0002994C
	v_add3_u32 v226, v76, v229, 1                              // 0000000084B4: D1FF00E2 0207CB4C
	v_cndmask_b32_e64 v32, v226, v228, s[74:75]                // 0000000084BC: D1000020 012BC9E2
	v_cmp_u_f32_e64 s[74:75], v77, v77                         // 0000000084C4: D048004A 00029B4D
	v_add3_u32 v226, v77, v229, 1                              // 0000000084CC: D1FF00E2 0207CB4D
	v_cndmask_b32_e64 v33, v226, v228, s[74:75]                // 0000000084D4: D1000021 012BC9E2
	v_perm_b32 v76, v33, v32, s64                              // 0000000084DC: D1ED004C 01024121
	v_cmp_u_f32_e64 s[74:75], v78, v78                         // 0000000084E4: D048004A 00029D4E
	v_add3_u32 v226, v78, v229, 1                              // 0000000084EC: D1FF00E2 0207CB4E
	v_cndmask_b32_e64 v32, v226, v228, s[74:75]                // 0000000084F4: D1000020 012BC9E2
	v_cmp_u_f32_e64 s[74:75], v79, v79                         // 0000000084FC: D048004A 00029F4F
	v_add3_u32 v226, v79, v229, 1                              // 000000008504: D1FF00E2 0207CB4F
	v_cndmask_b32_e64 v33, v226, v228, s[74:75]                // 00000000850C: D1000021 012BC9E2
	v_perm_b32 v77, v33, v32, s64                              // 000000008514: D1ED004D 01024121
	v_cmp_u_f32_e64 s[74:75], v80, v80                         // 00000000851C: D048004A 0002A150
	v_add3_u32 v226, v80, v229, 1                              // 000000008524: D1FF00E2 0207CB50
	v_cndmask_b32_e64 v32, v226, v228, s[74:75]                // 00000000852C: D1000020 012BC9E2
	v_cmp_u_f32_e64 s[74:75], v81, v81                         // 000000008534: D048004A 0002A351
	v_add3_u32 v226, v81, v229, 1                              // 00000000853C: D1FF00E2 0207CB51
	v_cndmask_b32_e64 v33, v226, v228, s[74:75]                // 000000008544: D1000021 012BC9E2
	v_perm_b32 v78, v33, v32, s64                              // 00000000854C: D1ED004E 01024121
	v_cmp_u_f32_e64 s[74:75], v82, v82                         // 000000008554: D048004A 0002A552
	v_add3_u32 v226, v82, v229, 1                              // 00000000855C: D1FF00E2 0207CB52
	v_cndmask_b32_e64 v32, v226, v228, s[74:75]                // 000000008564: D1000020 012BC9E2
	v_cmp_u_f32_e64 s[74:75], v83, v83                         // 00000000856C: D048004A 0002A753
	v_add3_u32 v226, v83, v229, 1                              // 000000008574: D1FF00E2 0207CB53
	v_cndmask_b32_e64 v33, v226, v228, s[74:75]                // 00000000857C: D1000021 012BC9E2
	v_perm_b32 v79, v33, v32, s64                              // 000000008584: D1ED004F 01024121
	v_cmp_u_f32_e64 s[74:75], v84, v84                         // 00000000858C: D048004A 0002A954
	v_add3_u32 v226, v84, v229, 1                              // 000000008594: D1FF00E2 0207CB54
	v_cndmask_b32_e64 v32, v226, v228, s[74:75]                // 00000000859C: D1000020 012BC9E2
	v_cmp_u_f32_e64 s[74:75], v85, v85                         // 0000000085A4: D048004A 0002AB55
	v_add3_u32 v226, v85, v229, 1                              // 0000000085AC: D1FF00E2 0207CB55
	v_cndmask_b32_e64 v33, v226, v228, s[74:75]                // 0000000085B4: D1000021 012BC9E2
	v_perm_b32 v80, v33, v32, s64                              // 0000000085BC: D1ED0050 01024121
	v_cmp_u_f32_e64 s[74:75], v86, v86                         // 0000000085C4: D048004A 0002AD56
	v_add3_u32 v226, v86, v229, 1                              // 0000000085CC: D1FF00E2 0207CB56
	v_cndmask_b32_e64 v32, v226, v228, s[74:75]                // 0000000085D4: D1000020 012BC9E2
	v_cmp_u_f32_e64 s[74:75], v87, v87                         // 0000000085DC: D048004A 0002AF57
	v_add3_u32 v226, v87, v229, 1                              // 0000000085E4: D1FF00E2 0207CB57
	v_cndmask_b32_e64 v33, v226, v228, s[74:75]                // 0000000085EC: D1000021 012BC9E2
	v_perm_b32 v81, v33, v32, s64                              // 0000000085F4: D1ED0051 01024121
	v_mfma_f32_16x16x16_bf16 v[198:201], v[126:127], v[166:167], v[198:201]// 0000000085FC: D3E100C6 071B4D7E
	v_mov_b32_dpp v18, v76 quad_perm:[1,0,3,2] row_mask:0xf bank_mask:0xf// 000000008604: 7E2402FA FF00B14C
	v_perm_b32 v52, v18, v76, v17                              // 00000000860C: D1ED0034 04469912
	v_mov_b32_dpp v18, v77 quad_perm:[1,0,3,2] row_mask:0xf bank_mask:0xf// 000000008614: 7E2402FA FF00B14D
	v_perm_b32 v53, v18, v77, v17                              // 00000000861C: D1ED0035 04469B12
	v_mov_b32_dpp v18, v78 quad_perm:[1,0,3,2] row_mask:0xf bank_mask:0xf// 000000008624: 7E2402FA FF00B14E
	v_perm_b32 v54, v18, v78, v17                              // 00000000862C: D1ED0036 04469D12
	v_mfma_f32_16x16x16_bf16 v[202:205], v[128:129], v[166:167], v[202:205]// 000000008634: D3E100CA 072B4D80
	ds_write_b32 v20, v52 offset:17408                         // 00000000863C: D81A4400 00003414
	ds_write_b32 v20, v53 offset:17952                         // 000000008644: D81A4620 00003514
	v_mfma_f32_16x16x16_bf16 v[206:209], v[130:131], v[166:167], v[206:209]// 00000000864C: D3E100CE 073B4D82
	v_mov_b32_dpp v18, v79 quad_perm:[1,0,3,2] row_mask:0xf bank_mask:0xf// 000000008654: 7E2402FA FF00B14F
	v_perm_b32 v55, v18, v79, v17                              // 00000000865C: D1ED0037 04469F12
	v_mov_b32_dpp v18, v80 quad_perm:[1,0,3,2] row_mask:0xf bank_mask:0xf// 000000008664: 7E2402FA FF00B150
	v_perm_b32 v56, v18, v80, v17                              // 00000000866C: D1ED0038 0446A112
	v_mov_b32_dpp v18, v81 quad_perm:[1,0,3,2] row_mask:0xf bank_mask:0xf// 000000008674: 7E2402FA FF00B151
	v_perm_b32 v57, v18, v81, v17                              // 00000000867C: D1ED0039 0446A312
	v_mfma_f32_16x16x16_bf16 v[210:213], v[124:125], v[168:169], v[210:213]// 000000008684: D3E100D2 074B517C
	ds_write_b32 v20, v54 offset:19712                         // 00000000868C: D81A4D00 00003614
	ds_write_b32 v20, v55 offset:20256                         // 000000008694: D81A4F20 00003714
	v_mfma_f32_16x16x16_bf16 v[214:217], v[126:127], v[168:169], v[214:217]// 00000000869C: D3E100D6 075B517E
	v_subrev_f32_dpp v88, v177, v88 quad_perm:[0,0,0,0] row_mask:0xf bank_mask:0xf// 0000000086A4: 06B0B0FA FF0000B1
	v_subrev_f32_dpp v89, v177, v89 quad_perm:[1,1,1,1] row_mask:0xf bank_mask:0xf// 0000000086AC: 06B2B2FA FF0055B1
	v_subrev_f32_dpp v90, v177, v90 quad_perm:[2,2,2,2] row_mask:0xf bank_mask:0xf// 0000000086B4: 06B4B4FA FF00AAB1
	v_subrev_f32_dpp v91, v177, v91 quad_perm:[3,3,3,3] row_mask:0xf bank_mask:0xf// 0000000086BC: 06B6B6FA FF00FFB1
	v_subrev_f32_dpp v92, v177, v92 quad_perm:[0,0,0,0] row_mask:0xf bank_mask:0xf// 0000000086C4: 06B8B8FA FF0000B1
	v_subrev_f32_dpp v93, v177, v93 quad_perm:[1,1,1,1] row_mask:0xf bank_mask:0xf// 0000000086CC: 06BABAFA FF0055B1
	v_mfma_f32_16x16x16_bf16 v[218:221], v[128:129], v[168:169], v[218:221]// 0000000086D4: D3E100DA 076B5180
	ds_write_b32 v20, v56 offset:22016                         // 0000000086DC: D81A5600 00003814
	ds_write_b32 v20, v57 offset:22560                         // 0000000086E4: D81A5820 00003914
	v_mfma_f32_16x16x16_bf16 v[222:225], v[130:131], v[168:169], v[222:225]// 0000000086EC: D3E100DE 077B5182
	v_subrev_f32_dpp v94, v177, v94 quad_perm:[2,2,2,2] row_mask:0xf bank_mask:0xf// 0000000086F4: 06BCBCFA FF00AAB1
	v_subrev_f32_dpp v95, v177, v95 quad_perm:[3,3,3,3] row_mask:0xf bank_mask:0xf// 0000000086FC: 06BEBEFA FF00FFB1
	v_subrev_f32_dpp v96, v177, v96 quad_perm:[0,0,0,0] row_mask:0xf bank_mask:0xf// 000000008704: 06C0C0FA FF0000B1
	v_subrev_f32_dpp v97, v177, v97 quad_perm:[1,1,1,1] row_mask:0xf bank_mask:0xf// 00000000870C: 06C2C2FA FF0055B1
	v_subrev_f32_dpp v98, v177, v98 quad_perm:[2,2,2,2] row_mask:0xf bank_mask:0xf// 000000008714: 06C4C4FA FF00AAB1
	v_subrev_f32_dpp v99, v177, v99 quad_perm:[3,3,3,3] row_mask:0xf bank_mask:0xf// 00000000871C: 06C6C6FA FF00FFB1
	v_mfma_f32_16x16x16_bf16 v[178:181], v[132:133], v[170:171], v[178:181]// 000000008724: D3E100B2 06CB5584
	v_mul_f32_e32 v88, v64, v88                                // 00000000872C: 0AB0B140
	v_mul_f32_e32 v89, v65, v89                                // 000000008730: 0AB2B341
	v_mul_f32_e32 v90, v66, v90                                // 000000008734: 0AB4B542
	v_mul_f32_e32 v91, v67, v91                                // 000000008738: 0AB6B743
	v_mul_f32_e32 v92, v68, v92                                // 00000000873C: 0AB8B944
	v_mul_f32_e32 v93, v69, v93                                // 000000008740: 0ABABB45
	v_mfma_f32_16x16x16_bf16 v[182:185], v[134:135], v[170:171], v[182:185]// 000000008744: D3E100B6 06DB5586
	v_mul_f32_e32 v94, v70, v94                                // 00000000874C: 0ABCBD46
	v_mul_f32_e32 v95, v71, v95                                // 000000008750: 0ABEBF47
	v_mul_f32_e32 v96, v72, v96                                // 000000008754: 0AC0C148
	v_mul_f32_e32 v97, v73, v97                                // 000000008758: 0AC2C349
	v_mul_f32_e32 v98, v74, v98                                // 00000000875C: 0AC4C54A
	v_mul_f32_e32 v99, v75, v99                                // 000000008760: 0AC6C74B
	v_mfma_f32_16x16x16_bf16 v[186:189], v[136:137], v[170:171], v[186:189]// 000000008764: D3E100BA 06EB5588
	v_cmp_u_f32_e64 s[74:75], v88, v88                         // 00000000876C: D048004A 0002B158
	v_add3_u32 v226, v88, v229, 1                              // 000000008774: D1FF00E2 0207CB58
	v_cndmask_b32_e64 v32, v226, v228, s[74:75]                // 00000000877C: D1000020 012BC9E2
	v_cmp_u_f32_e64 s[74:75], v89, v89                         // 000000008784: D048004A 0002B359
	v_add3_u32 v226, v89, v229, 1                              // 00000000878C: D1FF00E2 0207CB59
	v_cndmask_b32_e64 v33, v226, v228, s[74:75]                // 000000008794: D1000021 012BC9E2
	v_perm_b32 v82, v33, v32, s64                              // 00000000879C: D1ED0052 01024121
	v_cmp_u_f32_e64 s[74:75], v90, v90                         // 0000000087A4: D048004A 0002B55A
	v_add3_u32 v226, v90, v229, 1                              // 0000000087AC: D1FF00E2 0207CB5A
	v_cndmask_b32_e64 v32, v226, v228, s[74:75]                // 0000000087B4: D1000020 012BC9E2
	v_cmp_u_f32_e64 s[74:75], v91, v91                         // 0000000087BC: D048004A 0002B75B
	v_add3_u32 v226, v91, v229, 1                              // 0000000087C4: D1FF00E2 0207CB5B
	v_cndmask_b32_e64 v33, v226, v228, s[74:75]                // 0000000087CC: D1000021 012BC9E2
	v_perm_b32 v83, v33, v32, s64                              // 0000000087D4: D1ED0053 01024121
	v_cmp_u_f32_e64 s[74:75], v92, v92                         // 0000000087DC: D048004A 0002B95C
	v_add3_u32 v226, v92, v229, 1                              // 0000000087E4: D1FF00E2 0207CB5C
	v_cndmask_b32_e64 v32, v226, v228, s[74:75]                // 0000000087EC: D1000020 012BC9E2
	v_cmp_u_f32_e64 s[74:75], v93, v93                         // 0000000087F4: D048004A 0002BB5D
	v_add3_u32 v226, v93, v229, 1                              // 0000000087FC: D1FF00E2 0207CB5D
	v_cndmask_b32_e64 v33, v226, v228, s[74:75]                // 000000008804: D1000021 012BC9E2
	v_perm_b32 v84, v33, v32, s64                              // 00000000880C: D1ED0054 01024121
	v_cmp_u_f32_e64 s[74:75], v94, v94                         // 000000008814: D048004A 0002BD5E
	v_add3_u32 v226, v94, v229, 1                              // 00000000881C: D1FF00E2 0207CB5E
	v_cndmask_b32_e64 v32, v226, v228, s[74:75]                // 000000008824: D1000020 012BC9E2
	v_cmp_u_f32_e64 s[74:75], v95, v95                         // 00000000882C: D048004A 0002BF5F
	v_add3_u32 v226, v95, v229, 1                              // 000000008834: D1FF00E2 0207CB5F
	v_cndmask_b32_e64 v33, v226, v228, s[74:75]                // 00000000883C: D1000021 012BC9E2
	v_perm_b32 v85, v33, v32, s64                              // 000000008844: D1ED0055 01024121
	v_cmp_u_f32_e64 s[74:75], v96, v96                         // 00000000884C: D048004A 0002C160
	v_add3_u32 v226, v96, v229, 1                              // 000000008854: D1FF00E2 0207CB60
	v_cndmask_b32_e64 v32, v226, v228, s[74:75]                // 00000000885C: D1000020 012BC9E2
	v_cmp_u_f32_e64 s[74:75], v97, v97                         // 000000008864: D048004A 0002C361
	v_add3_u32 v226, v97, v229, 1                              // 00000000886C: D1FF00E2 0207CB61
	v_cndmask_b32_e64 v33, v226, v228, s[74:75]                // 000000008874: D1000021 012BC9E2
	v_perm_b32 v86, v33, v32, s64                              // 00000000887C: D1ED0056 01024121
	v_cmp_u_f32_e64 s[74:75], v98, v98                         // 000000008884: D048004A 0002C562
	v_add3_u32 v226, v98, v229, 1                              // 00000000888C: D1FF00E2 0207CB62
	v_cndmask_b32_e64 v32, v226, v228, s[74:75]                // 000000008894: D1000020 012BC9E2
	v_cmp_u_f32_e64 s[74:75], v99, v99                         // 00000000889C: D048004A 0002C763
	v_add3_u32 v226, v99, v229, 1                              // 0000000088A4: D1FF00E2 0207CB63
	v_cndmask_b32_e64 v33, v226, v228, s[74:75]                // 0000000088AC: D1000021 012BC9E2
	v_perm_b32 v87, v33, v32, s64                              // 0000000088B4: D1ED0057 01024121
	v_mfma_f32_16x16x16_bf16 v[190:193], v[138:139], v[170:171], v[190:193]// 0000000088BC: D3E100BE 06FB558A
	v_mov_b32_dpp v18, v82 quad_perm:[1,0,3,2] row_mask:0xf bank_mask:0xf// 0000000088C4: 7E2402FA FF00B152
	v_perm_b32 v58, v18, v82, v17                              // 0000000088CC: D1ED003A 0446A512
	v_mov_b32_dpp v18, v83 quad_perm:[1,0,3,2] row_mask:0xf bank_mask:0xf// 0000000088D4: 7E2402FA FF00B153
	v_perm_b32 v59, v18, v83, v17                              // 0000000088DC: D1ED003B 0446A712
	v_mov_b32_dpp v18, v84 quad_perm:[1,0,3,2] row_mask:0xf bank_mask:0xf// 0000000088E4: 7E2402FA FF00B154
	v_perm_b32 v60, v18, v84, v17                              // 0000000088EC: D1ED003C 0446A912
	v_mfma_f32_16x16x16_bf16 v[194:197], v[132:133], v[172:173], v[194:197]// 0000000088F4: D3E100C2 070B5984
	ds_write_b32 v20, v58 offset:24320                         // 0000000088FC: D81A5F00 00003A14
	ds_write_b32 v20, v59 offset:24864                         // 000000008904: D81A6120 00003B14
	v_mfma_f32_16x16x16_bf16 v[198:201], v[134:135], v[172:173], v[198:201]// 00000000890C: D3E100C6 071B5986
	v_mov_b32_dpp v18, v85 quad_perm:[1,0,3,2] row_mask:0xf bank_mask:0xf// 000000008914: 7E2402FA FF00B155
	v_perm_b32 v61, v18, v85, v17                              // 00000000891C: D1ED003D 0446AB12
	v_mov_b32_dpp v18, v86 quad_perm:[1,0,3,2] row_mask:0xf bank_mask:0xf// 000000008924: 7E2402FA FF00B156
	v_perm_b32 v62, v18, v86, v17                              // 00000000892C: D1ED003E 0446AD12
	v_mov_b32_dpp v18, v87 quad_perm:[1,0,3,2] row_mask:0xf bank_mask:0xf// 000000008934: 7E2402FA FF00B157
	v_perm_b32 v63, v18, v87, v17                              // 00000000893C: D1ED003F 0446AF12
	v_mfma_f32_16x16x16_bf16 v[202:205], v[136:137], v[172:173], v[202:205]// 000000008944: D3E100CA 072B5988
	ds_write_b32 v20, v60 offset:26624                         // 00000000894C: D81A6800 00003C14
	ds_write_b32 v20, v61 offset:27168                         // 000000008954: D81A6A20 00003D14
	ds_write_b32 v20, v62 offset:28928                         // 00000000895C: D81A7100 00003E14
	ds_write_b32 v20, v63 offset:29472                         // 000000008964: D81A7320 00003F14
	v_mfma_f32_16x16x16_bf16 v[206:209], v[138:139], v[172:173], v[206:209]// 00000000896C: D3E100CE 073B598A
	v_mfma_f32_16x16x16_bf16 v[210:213], v[132:133], v[174:175], v[210:213]// 000000008974: D3E100D2 074B5D84
	ds_write_b32 v15, v100 offset:4352                         // 00000000897C: D81A1100 0000640F
	ds_write_b32 v15, v101 offset:5408                         // 000000008984: D81A1520 0000650F
	v_mfma_f32_16x16x16_bf16 v[214:217], v[134:135], v[174:175], v[214:217]// 00000000898C: D3E100D6 075B5D86
	v_mfma_f32_16x16x16_bf16 v[218:221], v[136:137], v[174:175], v[218:221]// 000000008994: D3E100DA 076B5D88
	ds_write_b32 v15, v102 offset:6528                         // 00000000899C: D81A1980 0000660F
	ds_write_b32 v15, v103 offset:7584                         // 0000000089A4: D81A1DA0 0000670F
	v_mfma_f32_16x16x16_bf16 v[222:225], v[138:139], v[174:175], v[222:225]// 0000000089AC: D3E100DE 077B5D8A
	s_nop 0                                                    // 0000000089B4: BF800000
	s_nop 0                                                    // 0000000089B8: BF800000
	s_nop 0                                                    // 0000000089BC: BF800000
	s_barrier                                                  // 0000000089C0: BF8A0000
	v_mfma_f32_16x16x16_bf16 a[112:115], a[96:97], v[76:77], a[112:115]// 0000000089C4: D3E18070 0DC29960
	ds_read_b32 v140, v23 offset:39936                         // 0000000089CC: D86C9C00 8C000017
	ds_read_b32 v144, v23 offset:40000                         // 0000000089D4: D86C9C40 90000017
	ds_read_b32 v176, v23 offset:40192                         // 0000000089DC: D86C9D00 B0000017
	ds_read_b32 v177, v23 offset:40256                         // 0000000089E4: D86C9D40 B1000017
	v_mfma_f32_16x16x16_bf16 a[116:119], a[98:99], v[76:77], a[116:119]// 0000000089EC: D3E18074 0DD29962
	buffer_atomic_add_f32 v156, v6, s[32:35], 0 idxen          // 0000000089F4: E1342000 80089C06
	v_mfma_f32_16x16x16_bf16 a[120:123], a[100:101], v[76:77], a[120:123]// 0000000089FC: D3E18078 0DE29964
	s_waitcnt lgkmcnt(8)                                       // 000000008A04: BF8CC87F
	s_barrier                                                  // 000000008A08: BF8A0000
	v_mfma_f32_16x16x16_bf16 a[124:127], a[102:103], v[76:77], a[124:127]// 000000008A0C: D3E1807C 0DF29966
	v_mfma_f32_16x16x16_bf16 a[128:131], a[96:97], v[78:79], a[128:131]// 000000008A14: D3E18080 0E029D60
	ds_read_b128 v[52:55], v19 offset:17408                    // 000000008A1C: D9FE4400 34000013
	v_mfma_f32_16x16x16_bf16 a[132:135], a[98:99], v[78:79], a[132:135]// 000000008A24: D3E18084 0E129D62
	v_mfma_f32_16x16x16_bf16 a[136:139], a[100:101], v[78:79], a[136:139]// 000000008A2C: D3E18088 0E229D64
	ds_read_b128 v[56:59], v19 offset:18560                    // 000000008A34: D9FE4880 38000013
	v_mfma_f32_16x16x16_bf16 a[140:143], a[102:103], v[78:79], a[140:143]// 000000008A3C: D3E1808C 0E329D66
	buffer_atomic_add_f32 v157, v7, s[32:35], 0 idxen          // 000000008A44: E1342000 80089D07
	v_mfma_f32_16x16x16_bf16 a[144:147], a[96:97], v[80:81], a[144:147]// 000000008A4C: D3E18090 0E42A160
	ds_read_b128 v[60:63], v19 offset:19712                    // 000000008A54: D9FE4D00 3C000013
	v_mfma_f32_16x16x16_bf16 a[148:151], a[98:99], v[80:81], a[148:151]// 000000008A5C: D3E18094 0E52A162
	v_mfma_f32_16x16x16_bf16 a[152:155], a[100:101], v[80:81], a[152:155]// 000000008A64: D3E18098 0E62A164
	ds_read_b128 v[64:67], v19 offset:20864                    // 000000008A6C: D9FE5180 40000013
	v_mfma_f32_16x16x16_bf16 a[156:159], a[102:103], v[80:81], a[156:159]// 000000008A74: D3E1809C 0E72A166
	v_mfma_f32_16x16x16_bf16 a[112:115], a[104:105], v[82:83], a[112:115]// 000000008A7C: D3E18070 0DC2A568
	ds_read_b128 v[68:71], v19 offset:22016                    // 000000008A84: D9FE5600 44000013
	v_mfma_f32_16x16x16_bf16 a[116:119], a[106:107], v[82:83], a[116:119]// 000000008A8C: D3E18074 0DD2A56A
	buffer_atomic_add_f32 v158, v6, s[32:35], 0 idxen offset:128// 000000008A94: E1342080 80089E06
	v_mfma_f32_16x16x16_bf16 a[120:123], a[108:109], v[82:83], a[120:123]// 000000008A9C: D3E18078 0DE2A56C
	ds_read_b128 v[72:75], v19 offset:23168                    // 000000008AA4: D9FE5A80 48000013
	v_mfma_f32_16x16x16_bf16 a[124:127], a[110:111], v[82:83], a[124:127]// 000000008AAC: D3E1807C 0DF2A56E
	v_mfma_f32_16x16x16_bf16 a[128:131], a[104:105], v[84:85], a[128:131]// 000000008AB4: D3E18080 0E02A968
	ds_write_b32 v15, v104 offset:13056                        // 000000008ABC: D81A3300 0000680F
	v_mfma_f32_16x16x16_bf16 a[132:135], a[106:107], v[84:85], a[132:135]// 000000008AC4: D3E18084 0E12A96A
	v_mfma_f32_16x16x16_bf16 a[136:139], a[108:109], v[84:85], a[136:139]// 000000008ACC: D3E18088 0E22A96C
	ds_write_b32 v15, v105 offset:14112                        // 000000008AD4: D81A3720 0000690F
	v_mfma_f32_16x16x16_bf16 a[140:143], a[110:111], v[84:85], a[140:143]// 000000008ADC: D3E1808C 0E32A96E
	buffer_atomic_add_f32 v159, v7, s[32:35], 0 idxen offset:128// 000000008AE4: E1342080 80089F07
	v_mfma_f32_16x16x16_bf16 a[144:147], a[104:105], v[86:87], a[144:147]// 000000008AEC: D3E18090 0E42AD68
	ds_write_b32 v15, v106 offset:15232                        // 000000008AF4: D81A3B80 00006A0F
	v_mfma_f32_16x16x16_bf16 a[148:151], a[106:107], v[86:87], a[148:151]// 000000008AFC: D3E18094 0E52AD6A
	v_mfma_f32_16x16x16_bf16 a[152:155], a[108:109], v[86:87], a[152:155]// 000000008B04: D3E18098 0E62AD6C
	ds_write_b32 v15, v107 offset:16288                        // 000000008B0C: D81A3FA0 00006B0F
	v_mfma_f32_16x16x16_bf16 a[156:159], a[110:111], v[86:87], a[156:159]// 000000008B14: D3E1809C 0E72AD6E
	s_waitcnt vmcnt(8) lgkmcnt(4)                              // 000000008B1C: BF8C0478
	s_barrier                                                  // 000000008B20: BF8A0000
	v_mfma_f32_16x16x16_bf16 v[148:151], v[52:53], a[24:25], 0 // 000000008B24: D3E10094 12023134
	ds_read_b128 a[96:99], v12                                 // 000000008B2C: DBFE0000 6000000C
	buffer_load_dword v40, v1, s[8:11], 0 idxen                // 000000008B34: E0502000 80022801
	v_mfma_f32_16x16x16_bf16 v[148:151], v[54:55], a[28:29], v[148:151]// 000000008B3C: D3E10094 16523936
	v_mul_f32_e32 v140, s48, v140                              // 000000008B44: 0B191830
	v_mul_f32_e32 v144, s48, v144                              // 000000008B48: 0B212030
	s_nop 0                                                    // 000000008B4C: BF800000
	v_mfma_f32_16x16x16_bf16 v[148:151], v[56:57], a[32:33], v[148:151]// 000000008B50: D3E10094 16524138
	ds_read_b128 a[100:103], v12 offset:512                    // 000000008B58: DBFE0200 6400000C
	buffer_load_dword v41, v2, s[8:11], 0 idxen                // 000000008B60: E0502000 80022902
	v_mfma_f32_16x16x16_bf16 v[148:151], v[58:59], a[36:37], v[148:151]// 000000008B68: D3E10094 1652493A
	v_mfma_f32_16x16x16_bf16 v[148:151], v[60:61], a[40:41], v[148:151]// 000000008B70: D3E10094 1652513C
	ds_read_b128 a[104:107], v12 offset:2176                   // 000000008B78: DBFE0880 6800000C
	buffer_load_dword v42, v3, s[8:11], 0 idxen                // 000000008B80: E0502000 80022A03
	v_mfma_f32_16x16x16_bf16 v[148:151], v[62:63], a[44:45], v[148:151]// 000000008B88: D3E10094 1652593E
	v_perm_b32 v100, v37, v36, s63                             // 000000008B90: D1ED0064 00FE4925
	v_perm_b32 v101, v37, v36, s64                             // 000000008B98: D1ED0065 01024925
	v_mfma_f32_16x16x16_bf16 v[148:151], v[64:65], a[48:49], v[148:151]// 000000008BA0: D3E10094 16526140
	ds_read_b128 a[108:111], v12 offset:2688                   // 000000008BA8: DBFE0A80 6C00000C
	buffer_load_dword v43, v4, s[8:11], 0 idxen                // 000000008BB0: E0502000 80022B04
	v_mfma_f32_16x16x16_bf16 v[148:151], v[66:67], a[52:53], v[148:151]// 000000008BB8: D3E10094 16526942
	v_perm_b32 v102, v39, v38, s63                             // 000000008BC0: D1ED0066 00FE4D27
	v_perm_b32 v103, v39, v38, s64                             // 000000008BC8: D1ED0067 01024D27
	v_mfma_f32_16x16x16_bf16 v[148:151], v[68:69], a[56:57], v[148:151]// 000000008BD0: D3E10094 16527144
	ds_read_b128 v[108:111], v12 offset:8704                   // 000000008BD8: D9FE2200 6C00000C
	buffer_load_dword v48, v231, s[20:23], 0 idxen             // 000000008BE0: E0502000 800530E7
	v_mfma_f32_16x16x16_bf16 v[148:151], v[70:71], a[60:61], v[148:151]// 000000008BE8: D3E10094 16527946
	v_perm_b32 v104, v45, v44, s63                             // 000000008BF0: D1ED0068 00FE592D
	v_perm_b32 v105, v45, v44, s64                             // 000000008BF8: D1ED0069 0102592D
	v_mfma_f32_16x16x16_bf16 v[148:151], v[72:73], a[64:65], v[148:151]// 000000008C00: D3E10094 16528148
	ds_read_b128 v[112:115], v12 offset:9216                   // 000000008C08: D9FE2400 7000000C
	buffer_load_dword v49, v232, s[20:23], 0 idxen             // 000000008C10: E0502000 800531E8
	v_mfma_f32_16x16x16_bf16 v[148:151], v[74:75], a[68:69], v[148:151]// 000000008C18: D3E10094 1652894A
	v_perm_b32 v106, v47, v46, s63                             // 000000008C20: D1ED006A 00FE5D2F
	v_perm_b32 v107, v47, v46, s64                             // 000000008C28: D1ED006B 01025D2F
	v_mfma_f32_16x16x16_bf16 v[152:155], v[52:53], a[26:27], 0 // 000000008C30: D3E10098 12023534
	ds_read_b128 v[116:119], v12 offset:10880                  // 000000008C38: D9FE2A80 7400000C
	buffer_load_dword v50, v233, s[20:23], 0 idxen             // 000000008C40: E0502000 800532E9
	v_mfma_f32_16x16x16_bf16 v[152:155], v[54:55], a[30:31], v[152:155]// 000000008C48: D3E10098 16623D36
	v_mov_b32_dpp v143, v140 quad_perm:[3,3,3,3] row_mask:0xf bank_mask:0xf// 000000008C50: 7F1E02FA FF00FF8C
	v_mov_b32_dpp v142, v140 quad_perm:[2,2,2,2] row_mask:0xf bank_mask:0xf// 000000008C58: 7F1C02FA FF00AA8C
	v_mov_b32_dpp v141, v140 quad_perm:[1,1,1,1] row_mask:0xf bank_mask:0xf// 000000008C60: 7F1A02FA FF00558C
	v_mov_b32_dpp v140, v140 quad_perm:[0,0,0,0] row_mask:0xf bank_mask:0xf// 000000008C68: 7F1802FA FF00008C
	v_mfma_f32_16x16x16_bf16 v[152:155], v[56:57], a[34:35], v[152:155]// 000000008C70: D3E10098 16624538
	ds_read_b128 v[120:123], v12 offset:11392                  // 000000008C78: D9FE2C80 7800000C
	buffer_load_dword v51, v234, s[20:23], 0 idxen             // 000000008C80: E0502000 800533EA
	v_mfma_f32_16x16x16_bf16 v[152:155], v[58:59], a[38:39], v[152:155]// 000000008C88: D3E10098 16624D3A
	v_mov_b32_dpp v147, v144 quad_perm:[3,3,3,3] row_mask:0xf bank_mask:0xf// 000000008C90: 7F2602FA FF00FF90
	v_mov_b32_dpp v146, v144 quad_perm:[2,2,2,2] row_mask:0xf bank_mask:0xf// 000000008C98: 7F2402FA FF00AA90
	v_mov_b32_dpp v145, v144 quad_perm:[1,1,1,1] row_mask:0xf bank_mask:0xf// 000000008CA0: 7F2202FA FF005590
	v_mov_b32_dpp v144, v144 quad_perm:[0,0,0,0] row_mask:0xf bank_mask:0xf// 000000008CA8: 7F2002FA FF000090
	s_add_u32 s60, 0x80, s59                                   // 000000008CB0: 803C3BFF 00000080
	v_mfma_f32_16x16x16_bf16 v[152:155], v[60:61], a[42:43], v[152:155]// 000000008CB8: D3E10098 1662553C
	buffer_load_dword v11, s[24:27], 0 idxen lds               // 000000008CC0: E0512000 8006000B
	v_mfma_f32_16x16x16_bf16 v[152:155], v[62:63], a[46:47], v[152:155]// 000000008CC8: D3E10098 16625D3E
	s_cmp_lt_u32 s60, s58                                      // 000000008CD0: BF0A3A3C
	s_cselect_b32 s68, s68, 0                                  // 000000008CD4: 85448044
	s_cselect_b32 s81, s81, 0                                  // 000000008CD8: 85518051
	s_cselect_b32 s69, s69, 0                                  // 000000008CDC: 85458045
	v_mfma_f32_16x16x16_bf16 v[152:155], v[64:65], a[50:51], v[152:155]// 000000008CE0: D3E10098 16626540
	v_add_u32_e32 v1, s68, v1                                  // 000000008CE8: 68020244
	v_add_u32_e32 v2, s68, v2                                  // 000000008CEC: 68040444
	v_add_u32_e32 v3, s68, v3                                  // 000000008CF0: 68060644
	v_add_u32_e32 v4, s68, v4                                  // 000000008CF4: 68080844
	v_mfma_f32_16x16x16_bf16 v[152:155], v[66:67], a[54:55], v[152:155]// 000000008CF8: D3E10098 16626D42
	v_add_u32_e32 v231, s81, v231                              // 000000008D00: 69CFCE51
	v_add_u32_e32 v232, s81, v232                              // 000000008D04: 69D1D051
	v_add_u32_e32 v233, s81, v233                              // 000000008D08: 69D3D251
	v_add_u32_e32 v234, s81, v234                              // 000000008D0C: 69D5D451
	v_mfma_f32_16x16x16_bf16 v[152:155], v[68:69], a[58:59], v[152:155]// 000000008D10: D3E10098 16627544
	s_mov_b32 m0, s76                                          // 000000008D18: BEFC004C
	v_add_u32_e32 v11, s69, v11                                // 000000008D1C: 68161645
	v_mfma_f32_16x16x16_bf16 v[152:155], v[70:71], a[62:63], v[152:155]// 000000008D20: D3E10098 16627D46
	s_cmp_ge_u32 s59, 32                                       // 000000008D28: BF09A03B
	s_cselect_b32 s66, s67, s66                                // 000000008D2C: 85424243
	v_mfma_f32_16x16x16_bf16 v[152:155], v[72:73], a[66:67], v[152:155]// 000000008D30: D3E10098 16628548
	s_addk_i32 s59, 0x20                                       // 000000008D38: B73B0020
	s_nop 0                                                    // 000000008D3C: BF800000
	s_cmp_lt_i32 s59, s58                                      // 000000008D40: BF043A3B
	v_mfma_f32_16x16x16_bf16 v[152:155], v[74:75], a[70:71], v[152:155]// 000000008D44: D3E10098 16628D4A
	s_cbranch_scc0 label_0F02                                  // 000000008D4C: BF84FB9C
	s_waitcnt lgkmcnt(4)                                       // 000000008D50: BF8CC47F
	s_barrier                                                  // 000000008D54: BF8A0000
	v_mfma_f32_16x16x16_bf16 v[52:55], a[96:97], a[0:1], 0     // 000000008D58: D3E10034 1A020160
	v_mul_f32_e32 v148, s47, v148                              // 000000008D60: 0B29282F
	v_mul_f32_e32 v149, s47, v149                              // 000000008D64: 0B2B2A2F
	v_mfma_f32_16x16x16_bf16 v[52:55], a[98:99], a[2:3], v[52:55]// 000000008D68: D3E10034 1CD20562
	ds_write_b32 v13, v44 offset:8704                          // 000000008D70: D81A2200 00002C0D
	ds_write_b32 v13, v45 offset:9760                          // 000000008D78: D81A2620 00002D0D
	v_mfma_f32_16x16x16_bf16 v[52:55], a[100:101], a[4:5], v[52:55]// 000000008D80: D3E10034 1CD20964
	v_mul_f32_e32 v150, s47, v150                              // 000000008D88: 0B2D2C2F
	v_mul_f32_e32 v151, s47, v151                              // 000000008D8C: 0B2F2E2F
	v_mfma_f32_16x16x16_bf16 v[52:55], a[102:103], a[6:7], v[52:55]// 000000008D90: D3E10034 1CD20D66
	ds_write_b32 v13, v46 offset:10880                         // 000000008D98: D81A2A80 00002E0D
	ds_write_b32 v13, v47 offset:11936                         // 000000008DA0: D81A2EA0 00002F0D
	v_mfma_f32_16x16x16_bf16 v[56:59], a[96:97], a[8:9], 0     // 000000008DA8: D3E10038 1A021160
	v_mul_f32_e32 v152, s47, v152                              // 000000008DB0: 0B31302F
	v_mul_f32_e32 v153, s47, v153                              // 000000008DB4: 0B33322F
	v_mfma_f32_16x16x16_bf16 v[56:59], a[98:99], a[10:11], v[56:59]// 000000008DB8: D3E10038 1CE21562
	ds_write_b64 v22, v[148:149] offset:31232                  // 000000008DC0: D89A7A00 00009416
	v_mfma_f32_16x16x16_bf16 v[56:59], a[100:101], a[12:13], v[56:59]// 000000008DC8: D3E10038 1CE21964
	v_mul_f32_e32 v154, s47, v154                              // 000000008DD0: 0B35342F
	v_mul_f32_e32 v155, s47, v155                              // 000000008DD4: 0B37362F
	v_mfma_f32_16x16x16_bf16 v[56:59], a[102:103], a[14:15], v[56:59]// 000000008DD8: D3E10038 1CE21D66
	ds_write_b64 v22, v[150:151] offset:31744                  // 000000008DE0: D89A7C00 00009616
	v_mfma_f32_16x16x16_bf16 v[60:63], a[96:97], a[16:17], 0   // 000000008DE8: D3E1003C 1A022160
	buffer_atomic_add_f32 v160, v8, s[32:35], 0 idxen          // 000000008DF0: E1342000 8008A008
	v_mfma_f32_16x16x16_bf16 v[60:63], a[98:99], a[18:19], v[60:63]// 000000008DF8: D3E1003C 1CF22562
	ds_write_b64 v22, v[152:153] offset:32256                  // 000000008E00: D89A7E00 00009816
	v_mfma_f32_16x16x16_bf16 v[60:63], a[100:101], a[20:21], v[60:63]// 000000008E08: D3E1003C 1CF22964
	v_mfma_f32_16x16x16_bf16 v[60:63], a[102:103], a[22:23], v[60:63]// 000000008E10: D3E1003C 1CF22D66
	ds_write_b64 v22, v[154:155] offset:32768                  // 000000008E18: D89A8000 00009A16
	v_mfma_f32_16x16x16_bf16 v[64:67], a[104:105], a[0:1], 0   // 000000008E20: D3E10040 1A020168
	buffer_atomic_add_f32 v161, v9, s[32:35], 0 idxen          // 000000008E28: E1342000 8008A109
	v_mfma_f32_16x16x16_bf16 v[64:67], a[106:107], a[2:3], v[64:67]// 000000008E30: D3E10040 1D02056A
	ds_read_b128 v[124:127], v14 offset:13056                  // 000000008E38: D9FE3300 7C00000E
	ds_write_b32 v13, v36                                      // 000000008E40: D81A0000 0000240D
	v_mfma_f32_16x16x16_bf16 v[64:67], a[108:109], a[4:5], v[64:67]// 000000008E48: D3E10040 1D02096C
	v_mfma_f32_16x16x16_bf16 v[64:67], a[110:111], a[6:7], v[64:67]// 000000008E50: D3E10040 1D020D6E
	v_mfma_f32_16x16x16_bf16 v[68:71], a[104:105], a[8:9], 0   // 000000008E58: D3E10044 1A021168
	ds_read_b128 v[128:131], v14 offset:13568                  // 000000008E60: D9FE3500 8000000E
	ds_write_b32 v13, v37 offset:1056                          // 000000008E68: D81A0420 0000250D
	v_mfma_f32_16x16x16_bf16 v[68:71], a[106:107], a[10:11], v[68:71]// 000000008E70: D3E10044 1D12156A
	buffer_atomic_add_f32 v162, v8, s[32:35], 0 idxen offset:128// 000000008E78: E1342080 8008A208
	v_mfma_f32_16x16x16_bf16 v[68:71], a[108:109], a[12:13], v[68:71]// 000000008E80: D3E10044 1D12196C
	v_mfma_f32_16x16x16_bf16 v[68:71], a[110:111], a[14:15], v[68:71]// 000000008E88: D3E10044 1D121D6E
	ds_read_b128 v[132:135], v14 offset:15232                  // 000000008E90: D9FE3B80 8400000E
	ds_write_b32 v13, v38 offset:2176                          // 000000008E98: D81A0880 0000260D
	v_mfma_f32_16x16x16_bf16 v[72:75], a[104:105], a[16:17], 0 // 000000008EA0: D3E10048 1A022168
	v_mfma_f32_16x16x16_bf16 v[72:75], a[106:107], a[18:19], v[72:75]// 000000008EA8: D3E10048 1D22256A
	buffer_atomic_add_f32 v163, v9, s[32:35], 0 idxen offset:128// 000000008EB0: E1342080 8008A309
	v_mfma_f32_16x16x16_bf16 v[72:75], a[108:109], a[20:21], v[72:75]// 000000008EB8: D3E10048 1D22296C
	ds_read_b128 v[136:139], v14 offset:15744                  // 000000008EC0: D9FE3D80 8800000E
	ds_write_b32 v13, v39 offset:3232                          // 000000008EC8: D81A0CA0 0000270D
	v_mfma_f32_16x16x16_bf16 v[72:75], a[110:111], a[22:23], v[72:75]// 000000008ED0: D3E10048 1D222D6E
	s_cmp_lt_i32 s83, 0xc0                                     // 000000008ED8: BF04FF53 000000C0
	s_cbranch_scc0 label_144A                                  // 000000008EE0: BF84006D
	s_cmp_le_i32 s83, 64                                       // 000000008EE4: BF05C053
	s_cbranch_scc1 label_13DD                                  // 000000008EE8: BF850007
	s_cmp_le_i32 s83, 0x80                                     // 000000008EEC: BF05FF53 00000080
	s_cbranch_scc1 label_1401                                  // 000000008EF4: BF85001F
	s_cmp_lt_i32 s83, 0xc0                                     // 000000008EF8: BF04FF53 000000C0
	s_cbranch_scc1 label_1425                                  // 000000008F00: BF850040
	s_branch label_144A                                        // 000000008F04: BF820064

0000000000008f08 <label_13DD>:
	s_mov_b32 s60, 0                                           // 000000008F08: BEBC0080
	v_and_b32_e32 v32, 15, v0                                  // 000000008F0C: 2640008F
	v_add_u32_e64 v32, v32, s60                                // 000000008F10: D1340020 00007920
	v_mul_i32_i24_e64 v33, s46, 16                             // 000000008F18: D1060021 0001202E
	v_add_u32_e32 v32, v32, v33                                // 000000008F20: 68404320
	v_cmp_lt_u32_e64 s[60:61], v32, s83                        // 000000008F24: D0C9003C 0000A720
	s_nop 1                                                    // 000000008F2C: BF800001
	v_cndmask_b32_e64 v52, v230, v52, s[60:61]                 // 000000008F30: D1000034 00F269E6
	v_cndmask_b32_e64 v64, v230, v64, s[60:61]                 // 000000008F38: D1000040 00F281E6
	v_cndmask_b32_e64 v53, v230, v53, s[60:61]                 // 000000008F40: D1000035 00F26BE6
	v_cndmask_b32_e64 v65, v230, v65, s[60:61]                 // 000000008F48: D1000041 00F283E6
	v_cndmask_b32_e64 v54, v230, v54, s[60:61]                 // 000000008F50: D1000036 00F26DE6
	v_cndmask_b32_e64 v66, v230, v66, s[60:61]                 // 000000008F58: D1000042 00F285E6
	v_cndmask_b32_e64 v55, v230, v55, s[60:61]                 // 000000008F60: D1000037 00F26FE6
	v_cndmask_b32_e64 v67, v230, v67, s[60:61]                 // 000000008F68: D1000043 00F287E6
	s_branch label_141C                                        // 000000008F70: BF82001B

0000000000008f74 <label_1401>:
	s_mov_b32 s60, 64                                          // 000000008F74: BEBC00C0
	v_and_b32_e32 v32, 15, v0                                  // 000000008F78: 2640008F
	v_add_u32_e64 v32, v32, s60                                // 000000008F7C: D1340020 00007920
	v_mul_i32_i24_e64 v33, s46, 16                             // 000000008F84: D1060021 0001202E
	v_add_u32_e32 v32, v32, v33                                // 000000008F8C: 68404320
	v_cmp_lt_u32_e64 s[60:61], v32, s83                        // 000000008F90: D0C9003C 0000A720
	s_nop 1                                                    // 000000008F98: BF800001
	v_cndmask_b32_e64 v56, v230, v56, s[60:61]                 // 000000008F9C: D1000038 00F271E6
	v_cndmask_b32_e64 v68, v230, v68, s[60:61]                 // 000000008FA4: D1000044 00F289E6
	v_cndmask_b32_e64 v57, v230, v57, s[60:61]                 // 000000008FAC: D1000039 00F273E6
	v_cndmask_b32_e64 v69, v230, v69, s[60:61]                 // 000000008FB4: D1000045 00F28BE6
	v_cndmask_b32_e64 v58, v230, v58, s[60:61]                 // 000000008FBC: D100003A 00F275E6
	v_cndmask_b32_e64 v70, v230, v70, s[60:61]                 // 000000008FC4: D1000046 00F28DE6
	v_cndmask_b32_e64 v59, v230, v59, s[60:61]                 // 000000008FCC: D100003B 00F277E6
	v_cndmask_b32_e64 v71, v230, v71, s[60:61]                 // 000000008FD4: D1000047 00F28FE6
	s_branch label_1441                                        // 000000008FDC: BF820025

0000000000008fe0 <label_141C>:
	v_mov_b32_e32 v56, v230                                    // 000000008FE0: 7E7003E6
	v_mov_b32_e32 v68, v230                                    // 000000008FE4: 7E8803E6
	v_mov_b32_e32 v57, v230                                    // 000000008FE8: 7E7203E6
	v_mov_b32_e32 v69, v230                                    // 000000008FEC: 7E8A03E6
	v_mov_b32_e32 v58, v230                                    // 000000008FF0: 7E7403E6
	v_mov_b32_e32 v70, v230                                    // 000000008FF4: 7E8C03E6
	v_mov_b32_e32 v59, v230                                    // 000000008FF8: 7E7603E6
	v_mov_b32_e32 v71, v230                                    // 000000008FFC: 7E8E03E6
	s_branch label_1441                                        // 000000009000: BF82001C

0000000000009004 <label_1425>:
	s_mov_b32 s60, 0x80                                        // 000000009004: BEBC00FF 00000080
	v_and_b32_e32 v32, 15, v0                                  // 00000000900C: 2640008F
	v_add_u32_e64 v32, v32, s60                                // 000000009010: D1340020 00007920
	v_mul_i32_i24_e64 v33, s46, 16                             // 000000009018: D1060021 0001202E
	v_add_u32_e32 v32, v32, v33                                // 000000009020: 68404320
	v_cmp_lt_u32_e64 s[60:61], v32, s83                        // 000000009024: D0C9003C 0000A720
	s_nop 1                                                    // 00000000902C: BF800001
	v_cndmask_b32_e64 v60, v230, v60, s[60:61]                 // 000000009030: D100003C 00F279E6
	v_cndmask_b32_e64 v72, v230, v72, s[60:61]                 // 000000009038: D1000048 00F291E6
	v_cndmask_b32_e64 v61, v230, v61, s[60:61]                 // 000000009040: D100003D 00F27BE6
	v_cndmask_b32_e64 v73, v230, v73, s[60:61]                 // 000000009048: D1000049 00F293E6
	v_cndmask_b32_e64 v62, v230, v62, s[60:61]                 // 000000009050: D100003E 00F27DE6
	v_cndmask_b32_e64 v74, v230, v74, s[60:61]                 // 000000009058: D100004A 00F295E6
	v_cndmask_b32_e64 v63, v230, v63, s[60:61]                 // 000000009060: D100003F 00F27FE6
	v_cndmask_b32_e64 v75, v230, v75, s[60:61]                 // 000000009068: D100004B 00F297E6
	s_branch label_144A                                        // 000000009070: BF820009

0000000000009074 <label_1441>:
	v_mov_b32_e32 v60, v230                                    // 000000009074: 7E7803E6
	v_mov_b32_e32 v72, v230                                    // 000000009078: 7E9003E6
	v_mov_b32_e32 v61, v230                                    // 00000000907C: 7E7A03E6
	v_mov_b32_e32 v73, v230                                    // 000000009080: 7E9203E6
	v_mov_b32_e32 v62, v230                                    // 000000009084: 7E7C03E6
	v_mov_b32_e32 v74, v230                                    // 000000009088: 7E9403E6
	v_mov_b32_e32 v63, v230                                    // 00000000908C: 7E7E03E6
	v_mov_b32_e32 v75, v230                                    // 000000009090: 7E9603E6
	s_branch label_144A                                        // 000000009094: BF820000

0000000000009098 <label_144A>:
	s_waitcnt lgkmcnt(8)                                       // 000000009098: BF8CC87F
	s_barrier                                                  // 00000000909C: BF8A0000
	v_mfma_f32_16x16x16_bf16 v[76:79], v[108:109], a[72:73], 0 // 0000000090A0: D3E1004C 1202916C
	v_fma_f32 v52, v52, s57, -v140                             // 0000000090A8: D1CB0034 86307334
	v_fma_f32 v53, v53, s57, -v141                             // 0000000090B0: D1CB0035 86347335
	v_fma_f32 v54, v54, s57, -v142                             // 0000000090B8: D1CB0036 86387336
	v_fma_f32 v55, v55, s57, -v143                             // 0000000090C0: D1CB0037 863C7337
	v_fma_f32 v56, v56, s57, -v140                             // 0000000090C8: D1CB0038 86307338
	v_fma_f32 v57, v57, s57, -v141                             // 0000000090D0: D1CB0039 86347339
	v_mfma_f32_16x16x16_bf16 v[76:79], v[110:111], a[74:75], v[76:79]// 0000000090D8: D3E1004C 1532956E
	ds_read_b128 a[96:99], v14 offset:4352                     // 0000000090E0: DBFE1100 6000000E
	ds_read_b128 a[100:103], v14 offset:4864                   // 0000000090E8: DBFE1300 6400000E
	v_mfma_f32_16x16x16_bf16 v[76:79], v[112:113], a[76:77], v[76:79]// 0000000090F0: D3E1004C 15329970
	v_fma_f32 v58, v58, s57, -v142                             // 0000000090F8: D1CB003A 8638733A
	v_fma_f32 v59, v59, s57, -v143                             // 000000009100: D1CB003B 863C733B
	v_fma_f32 v60, v60, s57, -v140                             // 000000009108: D1CB003C 8630733C
	v_fma_f32 v61, v61, s57, -v141                             // 000000009110: D1CB003D 8634733D
	v_fma_f32 v62, v62, s57, -v142                             // 000000009118: D1CB003E 8638733E
	v_fma_f32 v63, v63, s57, -v143                             // 000000009120: D1CB003F 863C733F
	v_mfma_f32_16x16x16_bf16 v[76:79], v[114:115], a[78:79], v[76:79]// 000000009128: D3E1004C 15329D72
	v_fma_f32 v64, v64, s57, -v144                             // 000000009130: D1CB0040 86407340
	v_fma_f32 v65, v65, s57, -v145                             // 000000009138: D1CB0041 86447341
	v_fma_f32 v66, v66, s57, -v146                             // 000000009140: D1CB0042 86487342
	v_fma_f32 v67, v67, s57, -v147                             // 000000009148: D1CB0043 864C7343
	v_fma_f32 v68, v68, s57, -v144                             // 000000009150: D1CB0044 86407344
	v_fma_f32 v69, v69, s57, -v145                             // 000000009158: D1CB0045 86447345
	v_mfma_f32_16x16x16_bf16 v[80:83], v[108:109], a[80:81], 0 // 000000009160: D3E10050 1202A16C
	v_fma_f32 v70, v70, s57, -v146                             // 000000009168: D1CB0046 86487346
	v_fma_f32 v71, v71, s57, -v147                             // 000000009170: D1CB0047 864C7347
	v_fma_f32 v72, v72, s57, -v144                             // 000000009178: D1CB0048 86407348
	v_fma_f32 v73, v73, s57, -v145                             // 000000009180: D1CB0049 86447349
	v_fma_f32 v74, v74, s57, -v146                             // 000000009188: D1CB004A 8648734A
	v_fma_f32 v75, v75, s57, -v147                             // 000000009190: D1CB004B 864C734B
	v_mfma_f32_16x16x16_bf16 v[80:83], v[110:111], a[82:83], v[80:83]// 000000009198: D3E10050 1542A56E
	ds_read_b128 a[104:107], v14 offset:6528                   // 0000000091A0: DBFE1980 6800000E
	ds_read_b128 a[108:111], v14 offset:7040                   // 0000000091A8: DBFE1B80 6C00000E
	v_mfma_f32_16x16x16_bf16 v[80:83], v[112:113], a[84:85], v[80:83]// 0000000091B0: D3E10050 1542A970
	v_exp_f32_e32 v52, v52                                     // 0000000091B8: 7E684134
	v_exp_f32_e32 v53, v53                                     // 0000000091BC: 7E6A4135
	v_mfma_f32_16x16x16_bf16 v[80:83], v[114:115], a[86:87], v[80:83]// 0000000091C0: D3E10050 1542AD72
	v_exp_f32_e32 v54, v54                                     // 0000000091C8: 7E6C4136
	v_exp_f32_e32 v55, v55                                     // 0000000091CC: 7E6E4137
	v_mfma_f32_16x16x16_bf16 v[84:87], v[108:109], a[88:89], 0 // 0000000091D0: D3E10054 1202B16C
	v_exp_f32_e32 v56, v56                                     // 0000000091D8: 7E704138
	v_exp_f32_e32 v57, v57                                     // 0000000091DC: 7E724139
	v_mfma_f32_16x16x16_bf16 v[84:87], v[110:111], a[90:91], v[84:87]// 0000000091E0: D3E10054 1552B56E
	ds_read_b64 v[156:157], v21 offset:31232                   // 0000000091E8: D8EC7A00 9C000015
	ds_read_b64 v[158:159], v21 offset:33280                   // 0000000091F0: D8EC8200 9E000015
	v_mfma_f32_16x16x16_bf16 v[84:87], v[112:113], a[92:93], v[84:87]// 0000000091F8: D3E10054 1552B970
	v_exp_f32_e32 v58, v58                                     // 000000009200: 7E74413A
	v_exp_f32_e32 v59, v59                                     // 000000009204: 7E76413B
	v_mfma_f32_16x16x16_bf16 v[84:87], v[114:115], a[94:95], v[84:87]// 000000009208: D3E10054 1552BD72
	ds_read_b64 v[160:161], v21 offset:35328                   // 000000009210: D8EC8A00 A0000015
	ds_read_b64 v[162:163], v21 offset:37376                   // 000000009218: D8EC9200 A2000015
	v_mfma_f32_16x16x16_bf16 v[88:91], v[116:117], a[72:73], 0 // 000000009220: D3E10058 12029174
	v_exp_f32_e32 v60, v60                                     // 000000009228: 7E78413C
	v_exp_f32_e32 v61, v61                                     // 00000000922C: 7E7A413D
	v_mfma_f32_16x16x16_bf16 v[88:91], v[118:119], a[74:75], v[88:91]// 000000009230: D3E10058 15629576
	v_exp_f32_e32 v62, v62                                     // 000000009238: 7E7C413E
	v_exp_f32_e32 v63, v63                                     // 00000000923C: 7E7E413F
	v_mfma_f32_16x16x16_bf16 v[88:91], v[120:121], a[76:77], v[88:91]// 000000009240: D3E10058 15629978
	v_exp_f32_e32 v64, v64                                     // 000000009248: 7E804140
	v_exp_f32_e32 v65, v65                                     // 00000000924C: 7E824141
	v_mfma_f32_16x16x16_bf16 v[88:91], v[122:123], a[78:79], v[88:91]// 000000009250: D3E10058 15629D7A
	v_exp_f32_e32 v66, v66                                     // 000000009258: 7E844142
	v_exp_f32_e32 v67, v67                                     // 00000000925C: 7E864143
	v_mfma_f32_16x16x16_bf16 v[92:95], v[116:117], a[80:81], 0 // 000000009260: D3E1005C 1202A174
	v_exp_f32_e32 v68, v68                                     // 000000009268: 7E884144
	v_exp_f32_e32 v69, v69                                     // 00000000926C: 7E8A4145
	v_mfma_f32_16x16x16_bf16 v[92:95], v[118:119], a[82:83], v[92:95]// 000000009270: D3E1005C 1572A576
	v_exp_f32_e32 v70, v70                                     // 000000009278: 7E8C4146
	v_exp_f32_e32 v71, v71                                     // 00000000927C: 7E8E4147
	v_mfma_f32_16x16x16_bf16 v[92:95], v[120:121], a[84:85], v[92:95]// 000000009280: D3E1005C 1572A978
	v_exp_f32_e32 v72, v72                                     // 000000009288: 7E904148
	v_exp_f32_e32 v73, v73                                     // 00000000928C: 7E924149
	v_mfma_f32_16x16x16_bf16 v[92:95], v[122:123], a[86:87], v[92:95]// 000000009290: D3E1005C 1572AD7A
	v_exp_f32_e32 v74, v74                                     // 000000009298: 7E94414A
	v_exp_f32_e32 v75, v75                                     // 00000000929C: 7E96414B
	v_mfma_f32_16x16x16_bf16 v[96:99], v[116:117], a[88:89], 0 // 0000000092A0: D3E10060 1202B174
	v_cmp_u_f32_e64 s[74:75], v52, v52                         // 0000000092A8: D048004A 00026934
	v_add3_u32 v226, v52, v229, 1                              // 0000000092B0: D1FF00E2 0207CB34
	v_cndmask_b32_e64 v32, v226, v228, s[74:75]                // 0000000092B8: D1000020 012BC9E2
	v_cmp_u_f32_e64 s[74:75], v53, v53                         // 0000000092C0: D048004A 00026B35
	v_add3_u32 v226, v53, v229, 1                              // 0000000092C8: D1FF00E2 0207CB35
	v_cndmask_b32_e64 v33, v226, v228, s[74:75]                // 0000000092D0: D1000021 012BC9E2
	v_perm_b32 v164, v33, v32, s64                             // 0000000092D8: D1ED00A4 01024121
	v_cmp_u_f32_e64 s[74:75], v54, v54                         // 0000000092E0: D048004A 00026D36
	v_add3_u32 v226, v54, v229, 1                              // 0000000092E8: D1FF00E2 0207CB36
	v_cndmask_b32_e64 v32, v226, v228, s[74:75]                // 0000000092F0: D1000020 012BC9E2
	v_cmp_u_f32_e64 s[74:75], v55, v55                         // 0000000092F8: D048004A 00026F37
	v_add3_u32 v226, v55, v229, 1                              // 000000009300: D1FF00E2 0207CB37
	v_cndmask_b32_e64 v33, v226, v228, s[74:75]                // 000000009308: D1000021 012BC9E2
	v_perm_b32 v165, v33, v32, s64                             // 000000009310: D1ED00A5 01024121
	v_cmp_u_f32_e64 s[74:75], v56, v56                         // 000000009318: D048004A 00027138
	v_add3_u32 v226, v56, v229, 1                              // 000000009320: D1FF00E2 0207CB38
	v_cndmask_b32_e64 v32, v226, v228, s[74:75]                // 000000009328: D1000020 012BC9E2
	v_cmp_u_f32_e64 s[74:75], v57, v57                         // 000000009330: D048004A 00027339
	v_add3_u32 v226, v57, v229, 1                              // 000000009338: D1FF00E2 0207CB39
	v_cndmask_b32_e64 v33, v226, v228, s[74:75]                // 000000009340: D1000021 012BC9E2
	v_perm_b32 v166, v33, v32, s64                             // 000000009348: D1ED00A6 01024121
	v_cmp_u_f32_e64 s[74:75], v58, v58                         // 000000009350: D048004A 0002753A
	v_add3_u32 v226, v58, v229, 1                              // 000000009358: D1FF00E2 0207CB3A
	v_cndmask_b32_e64 v32, v226, v228, s[74:75]                // 000000009360: D1000020 012BC9E2
	v_cmp_u_f32_e64 s[74:75], v59, v59                         // 000000009368: D048004A 0002773B
	v_add3_u32 v226, v59, v229, 1                              // 000000009370: D1FF00E2 0207CB3B
	v_cndmask_b32_e64 v33, v226, v228, s[74:75]                // 000000009378: D1000021 012BC9E2
	v_perm_b32 v167, v33, v32, s64                             // 000000009380: D1ED00A7 01024121
	v_cmp_u_f32_e64 s[74:75], v60, v60                         // 000000009388: D048004A 0002793C
	v_add3_u32 v226, v60, v229, 1                              // 000000009390: D1FF00E2 0207CB3C
	v_cndmask_b32_e64 v32, v226, v228, s[74:75]                // 000000009398: D1000020 012BC9E2
	v_cmp_u_f32_e64 s[74:75], v61, v61                         // 0000000093A0: D048004A 00027B3D
	v_add3_u32 v226, v61, v229, 1                              // 0000000093A8: D1FF00E2 0207CB3D
	v_cndmask_b32_e64 v33, v226, v228, s[74:75]                // 0000000093B0: D1000021 012BC9E2
	v_perm_b32 v168, v33, v32, s64                             // 0000000093B8: D1ED00A8 01024121
	v_cmp_u_f32_e64 s[74:75], v62, v62                         // 0000000093C0: D048004A 00027D3E
	v_add3_u32 v226, v62, v229, 1                              // 0000000093C8: D1FF00E2 0207CB3E
	v_cndmask_b32_e64 v32, v226, v228, s[74:75]                // 0000000093D0: D1000020 012BC9E2
	v_cmp_u_f32_e64 s[74:75], v63, v63                         // 0000000093D8: D048004A 00027F3F
	v_add3_u32 v226, v63, v229, 1                              // 0000000093E0: D1FF00E2 0207CB3F
	v_cndmask_b32_e64 v33, v226, v228, s[74:75]                // 0000000093E8: D1000021 012BC9E2
	v_perm_b32 v169, v33, v32, s64                             // 0000000093F0: D1ED00A9 01024121
	v_mfma_f32_16x16x16_bf16 v[96:99], v[118:119], a[90:91], v[96:99]// 0000000093F8: D3E10060 1582B576
	v_cmp_u_f32_e64 s[74:75], v64, v64                         // 000000009400: D048004A 00028140
	v_add3_u32 v226, v64, v229, 1                              // 000000009408: D1FF00E2 0207CB40
	v_cndmask_b32_e64 v32, v226, v228, s[74:75]                // 000000009410: D1000020 012BC9E2
	v_cmp_u_f32_e64 s[74:75], v65, v65                         // 000000009418: D048004A 00028341
	v_add3_u32 v226, v65, v229, 1                              // 000000009420: D1FF00E2 0207CB41
	v_cndmask_b32_e64 v33, v226, v228, s[74:75]                // 000000009428: D1000021 012BC9E2
	v_perm_b32 v170, v33, v32, s64                             // 000000009430: D1ED00AA 01024121
	v_cmp_u_f32_e64 s[74:75], v66, v66                         // 000000009438: D048004A 00028542
	v_add3_u32 v226, v66, v229, 1                              // 000000009440: D1FF00E2 0207CB42
	v_cndmask_b32_e64 v32, v226, v228, s[74:75]                // 000000009448: D1000020 012BC9E2
	v_cmp_u_f32_e64 s[74:75], v67, v67                         // 000000009450: D048004A 00028743
	v_add3_u32 v226, v67, v229, 1                              // 000000009458: D1FF00E2 0207CB43
	v_cndmask_b32_e64 v33, v226, v228, s[74:75]                // 000000009460: D1000021 012BC9E2
	v_perm_b32 v171, v33, v32, s64                             // 000000009468: D1ED00AB 01024121
	v_cmp_u_f32_e64 s[74:75], v68, v68                         // 000000009470: D048004A 00028944
	v_add3_u32 v226, v68, v229, 1                              // 000000009478: D1FF00E2 0207CB44
	v_cndmask_b32_e64 v32, v226, v228, s[74:75]                // 000000009480: D1000020 012BC9E2
	v_cmp_u_f32_e64 s[74:75], v69, v69                         // 000000009488: D048004A 00028B45
	v_add3_u32 v226, v69, v229, 1                              // 000000009490: D1FF00E2 0207CB45
	v_cndmask_b32_e64 v33, v226, v228, s[74:75]                // 000000009498: D1000021 012BC9E2
	v_perm_b32 v172, v33, v32, s64                             // 0000000094A0: D1ED00AC 01024121
	v_cmp_u_f32_e64 s[74:75], v70, v70                         // 0000000094A8: D048004A 00028D46
	v_add3_u32 v226, v70, v229, 1                              // 0000000094B0: D1FF00E2 0207CB46
	v_cndmask_b32_e64 v32, v226, v228, s[74:75]                // 0000000094B8: D1000020 012BC9E2
	v_cmp_u_f32_e64 s[74:75], v71, v71                         // 0000000094C0: D048004A 00028F47
	v_add3_u32 v226, v71, v229, 1                              // 0000000094C8: D1FF00E2 0207CB47
	v_cndmask_b32_e64 v33, v226, v228, s[74:75]                // 0000000094D0: D1000021 012BC9E2
	v_perm_b32 v173, v33, v32, s64                             // 0000000094D8: D1ED00AD 01024121
	v_cmp_u_f32_e64 s[74:75], v72, v72                         // 0000000094E0: D048004A 00029148
	v_add3_u32 v226, v72, v229, 1                              // 0000000094E8: D1FF00E2 0207CB48
	v_cndmask_b32_e64 v32, v226, v228, s[74:75]                // 0000000094F0: D1000020 012BC9E2
	v_cmp_u_f32_e64 s[74:75], v73, v73                         // 0000000094F8: D048004A 00029349
	v_add3_u32 v226, v73, v229, 1                              // 000000009500: D1FF00E2 0207CB49
	v_cndmask_b32_e64 v33, v226, v228, s[74:75]                // 000000009508: D1000021 012BC9E2
	v_perm_b32 v174, v33, v32, s64                             // 000000009510: D1ED00AE 01024121
	v_cmp_u_f32_e64 s[74:75], v74, v74                         // 000000009518: D048004A 0002954A
	v_add3_u32 v226, v74, v229, 1                              // 000000009520: D1FF00E2 0207CB4A
	v_cndmask_b32_e64 v32, v226, v228, s[74:75]                // 000000009528: D1000020 012BC9E2
	v_cmp_u_f32_e64 s[74:75], v75, v75                         // 000000009530: D048004A 0002974B
	v_add3_u32 v226, v75, v229, 1                              // 000000009538: D1FF00E2 0207CB4B
	v_cndmask_b32_e64 v33, v226, v228, s[74:75]                // 000000009540: D1000021 012BC9E2
	v_perm_b32 v175, v33, v32, s64                             // 000000009548: D1ED00AF 01024121
	v_mfma_f32_16x16x16_bf16 v[96:99], v[120:121], a[92:93], v[96:99]// 000000009550: D3E10060 1582B978
	v_add_u32_e32 v6, s66, v6                                  // 000000009558: 680C0C42
	v_add_u32_e32 v7, s66, v7                                  // 00000000955C: 680E0E42
	v_add_u32_e32 v8, s66, v8                                  // 000000009560: 68101042
	v_add_u32_e32 v9, s66, v9                                  // 000000009564: 68121242
	v_mfma_f32_16x16x16_bf16 v[96:99], v[122:123], a[94:95], v[96:99]// 000000009568: D3E10060 1582BD7A
	s_waitcnt lgkmcnt(0)                                       // 000000009570: BF8CC07F
	s_barrier                                                  // 000000009574: BF8A0000
	v_mfma_f32_16x16x16_bf16 v[178:181], v[124:125], v[164:165], v[178:181]// 000000009578: D3E100B2 06CB497C
	v_subrev_f32_dpp v76, v176, v76 quad_perm:[0,0,0,0] row_mask:0xf bank_mask:0xf// 000000009580: 069898FA FF0000B0
	v_subrev_f32_dpp v77, v176, v77 quad_perm:[1,1,1,1] row_mask:0xf bank_mask:0xf// 000000009588: 069A9AFA FF0055B0
	v_subrev_f32_dpp v78, v176, v78 quad_perm:[2,2,2,2] row_mask:0xf bank_mask:0xf// 000000009590: 069C9CFA FF00AAB0
	v_subrev_f32_dpp v79, v176, v79 quad_perm:[3,3,3,3] row_mask:0xf bank_mask:0xf// 000000009598: 069E9EFA FF00FFB0
	v_subrev_f32_dpp v80, v176, v80 quad_perm:[0,0,0,0] row_mask:0xf bank_mask:0xf// 0000000095A0: 06A0A0FA FF0000B0
	v_subrev_f32_dpp v81, v176, v81 quad_perm:[1,1,1,1] row_mask:0xf bank_mask:0xf// 0000000095A8: 06A2A2FA FF0055B0
	v_mfma_f32_16x16x16_bf16 v[182:185], v[126:127], v[164:165], v[182:185]// 0000000095B0: D3E100B6 06DB497E
	v_subrev_f32_dpp v82, v176, v82 quad_perm:[2,2,2,2] row_mask:0xf bank_mask:0xf// 0000000095B8: 06A4A4FA FF00AAB0
	v_subrev_f32_dpp v83, v176, v83 quad_perm:[3,3,3,3] row_mask:0xf bank_mask:0xf// 0000000095C0: 06A6A6FA FF00FFB0
	v_subrev_f32_dpp v84, v176, v84 quad_perm:[0,0,0,0] row_mask:0xf bank_mask:0xf// 0000000095C8: 06A8A8FA FF0000B0
	v_subrev_f32_dpp v85, v176, v85 quad_perm:[1,1,1,1] row_mask:0xf bank_mask:0xf// 0000000095D0: 06AAAAFA FF0055B0
	v_subrev_f32_dpp v86, v176, v86 quad_perm:[2,2,2,2] row_mask:0xf bank_mask:0xf// 0000000095D8: 06ACACFA FF00AAB0
	v_subrev_f32_dpp v87, v176, v87 quad_perm:[3,3,3,3] row_mask:0xf bank_mask:0xf// 0000000095E0: 06AEAEFA FF00FFB0
	v_mfma_f32_16x16x16_bf16 v[186:189], v[128:129], v[164:165], v[186:189]// 0000000095E8: D3E100BA 06EB4980
	v_mul_f32_e32 v76, v52, v76                                // 0000000095F0: 0A989934
	v_mul_f32_e32 v77, v53, v77                                // 0000000095F4: 0A9A9B35
	v_mul_f32_e32 v78, v54, v78                                // 0000000095F8: 0A9C9D36
	v_mul_f32_e32 v79, v55, v79                                // 0000000095FC: 0A9E9F37
	v_mul_f32_e32 v80, v56, v80                                // 000000009600: 0AA0A138
	v_mul_f32_e32 v81, v57, v81                                // 000000009604: 0AA2A339
	v_mfma_f32_16x16x16_bf16 v[190:193], v[130:131], v[164:165], v[190:193]// 000000009608: D3E100BE 06FB4982
	v_mul_f32_e32 v82, v58, v82                                // 000000009610: 0AA4A53A
	v_mul_f32_e32 v83, v59, v83                                // 000000009614: 0AA6A73B
	v_mul_f32_e32 v84, v60, v84                                // 000000009618: 0AA8A93C
	v_mul_f32_e32 v85, v61, v85                                // 00000000961C: 0AAAAB3D
	v_mul_f32_e32 v86, v62, v86                                // 000000009620: 0AACAD3E
	v_mul_f32_e32 v87, v63, v87                                // 000000009624: 0AAEAF3F
	v_mfma_f32_16x16x16_bf16 v[194:197], v[124:125], v[166:167], v[194:197]// 000000009628: D3E100C2 070B4D7C
	v_cmp_u_f32_e64 s[74:75], v76, v76                         // 000000009630: D048004A 0002994C
	v_add3_u32 v226, v76, v229, 1                              // 000000009638: D1FF00E2 0207CB4C
	v_cndmask_b32_e64 v32, v226, v228, s[74:75]                // 000000009640: D1000020 012BC9E2
	v_cmp_u_f32_e64 s[74:75], v77, v77                         // 000000009648: D048004A 00029B4D
	v_add3_u32 v226, v77, v229, 1                              // 000000009650: D1FF00E2 0207CB4D
	v_cndmask_b32_e64 v33, v226, v228, s[74:75]                // 000000009658: D1000021 012BC9E2
	v_perm_b32 v76, v33, v32, s64                              // 000000009660: D1ED004C 01024121
	v_cmp_u_f32_e64 s[74:75], v78, v78                         // 000000009668: D048004A 00029D4E
	v_add3_u32 v226, v78, v229, 1                              // 000000009670: D1FF00E2 0207CB4E
	v_cndmask_b32_e64 v32, v226, v228, s[74:75]                // 000000009678: D1000020 012BC9E2
	v_cmp_u_f32_e64 s[74:75], v79, v79                         // 000000009680: D048004A 00029F4F
	v_add3_u32 v226, v79, v229, 1                              // 000000009688: D1FF00E2 0207CB4F
	v_cndmask_b32_e64 v33, v226, v228, s[74:75]                // 000000009690: D1000021 012BC9E2
	v_perm_b32 v77, v33, v32, s64                              // 000000009698: D1ED004D 01024121
	v_cmp_u_f32_e64 s[74:75], v80, v80                         // 0000000096A0: D048004A 0002A150
	v_add3_u32 v226, v80, v229, 1                              // 0000000096A8: D1FF00E2 0207CB50
	v_cndmask_b32_e64 v32, v226, v228, s[74:75]                // 0000000096B0: D1000020 012BC9E2
	v_cmp_u_f32_e64 s[74:75], v81, v81                         // 0000000096B8: D048004A 0002A351
	v_add3_u32 v226, v81, v229, 1                              // 0000000096C0: D1FF00E2 0207CB51
	v_cndmask_b32_e64 v33, v226, v228, s[74:75]                // 0000000096C8: D1000021 012BC9E2
	v_perm_b32 v78, v33, v32, s64                              // 0000000096D0: D1ED004E 01024121
	v_cmp_u_f32_e64 s[74:75], v82, v82                         // 0000000096D8: D048004A 0002A552
	v_add3_u32 v226, v82, v229, 1                              // 0000000096E0: D1FF00E2 0207CB52
	v_cndmask_b32_e64 v32, v226, v228, s[74:75]                // 0000000096E8: D1000020 012BC9E2
	v_cmp_u_f32_e64 s[74:75], v83, v83                         // 0000000096F0: D048004A 0002A753
	v_add3_u32 v226, v83, v229, 1                              // 0000000096F8: D1FF00E2 0207CB53
	v_cndmask_b32_e64 v33, v226, v228, s[74:75]                // 000000009700: D1000021 012BC9E2
	v_perm_b32 v79, v33, v32, s64                              // 000000009708: D1ED004F 01024121
	v_cmp_u_f32_e64 s[74:75], v84, v84                         // 000000009710: D048004A 0002A954
	v_add3_u32 v226, v84, v229, 1                              // 000000009718: D1FF00E2 0207CB54
	v_cndmask_b32_e64 v32, v226, v228, s[74:75]                // 000000009720: D1000020 012BC9E2
	v_cmp_u_f32_e64 s[74:75], v85, v85                         // 000000009728: D048004A 0002AB55
	v_add3_u32 v226, v85, v229, 1                              // 000000009730: D1FF00E2 0207CB55
	v_cndmask_b32_e64 v33, v226, v228, s[74:75]                // 000000009738: D1000021 012BC9E2
	v_perm_b32 v80, v33, v32, s64                              // 000000009740: D1ED0050 01024121
	v_cmp_u_f32_e64 s[74:75], v86, v86                         // 000000009748: D048004A 0002AD56
	v_add3_u32 v226, v86, v229, 1                              // 000000009750: D1FF00E2 0207CB56
	v_cndmask_b32_e64 v32, v226, v228, s[74:75]                // 000000009758: D1000020 012BC9E2
	v_cmp_u_f32_e64 s[74:75], v87, v87                         // 000000009760: D048004A 0002AF57
	v_add3_u32 v226, v87, v229, 1                              // 000000009768: D1FF00E2 0207CB57
	v_cndmask_b32_e64 v33, v226, v228, s[74:75]                // 000000009770: D1000021 012BC9E2
	v_perm_b32 v81, v33, v32, s64                              // 000000009778: D1ED0051 01024121
	v_mfma_f32_16x16x16_bf16 v[198:201], v[126:127], v[166:167], v[198:201]// 000000009780: D3E100C6 071B4D7E
	v_mov_b32_dpp v18, v76 quad_perm:[1,0,3,2] row_mask:0xf bank_mask:0xf// 000000009788: 7E2402FA FF00B14C
	v_perm_b32 v52, v18, v76, v17                              // 000000009790: D1ED0034 04469912
	v_mov_b32_dpp v18, v77 quad_perm:[1,0,3,2] row_mask:0xf bank_mask:0xf// 000000009798: 7E2402FA FF00B14D
	v_perm_b32 v53, v18, v77, v17                              // 0000000097A0: D1ED0035 04469B12
	v_mov_b32_dpp v18, v78 quad_perm:[1,0,3,2] row_mask:0xf bank_mask:0xf// 0000000097A8: 7E2402FA FF00B14E
	v_perm_b32 v54, v18, v78, v17                              // 0000000097B0: D1ED0036 04469D12
	v_mfma_f32_16x16x16_bf16 v[202:205], v[128:129], v[166:167], v[202:205]// 0000000097B8: D3E100CA 072B4D80
	ds_write_b32 v20, v52 offset:17408                         // 0000000097C0: D81A4400 00003414
	ds_write_b32 v20, v53 offset:17952                         // 0000000097C8: D81A4620 00003514
	v_mfma_f32_16x16x16_bf16 v[206:209], v[130:131], v[166:167], v[206:209]// 0000000097D0: D3E100CE 073B4D82
	v_mov_b32_dpp v18, v79 quad_perm:[1,0,3,2] row_mask:0xf bank_mask:0xf// 0000000097D8: 7E2402FA FF00B14F
	v_perm_b32 v55, v18, v79, v17                              // 0000000097E0: D1ED0037 04469F12
	v_mov_b32_dpp v18, v80 quad_perm:[1,0,3,2] row_mask:0xf bank_mask:0xf// 0000000097E8: 7E2402FA FF00B150
	v_perm_b32 v56, v18, v80, v17                              // 0000000097F0: D1ED0038 0446A112
	v_mov_b32_dpp v18, v81 quad_perm:[1,0,3,2] row_mask:0xf bank_mask:0xf// 0000000097F8: 7E2402FA FF00B151
	v_perm_b32 v57, v18, v81, v17                              // 000000009800: D1ED0039 0446A312
	v_mfma_f32_16x16x16_bf16 v[210:213], v[124:125], v[168:169], v[210:213]// 000000009808: D3E100D2 074B517C
	ds_write_b32 v20, v54 offset:19712                         // 000000009810: D81A4D00 00003614
	ds_write_b32 v20, v55 offset:20256                         // 000000009818: D81A4F20 00003714
	v_mfma_f32_16x16x16_bf16 v[214:217], v[126:127], v[168:169], v[214:217]// 000000009820: D3E100D6 075B517E
	v_subrev_f32_dpp v88, v177, v88 quad_perm:[0,0,0,0] row_mask:0xf bank_mask:0xf// 000000009828: 06B0B0FA FF0000B1
	v_subrev_f32_dpp v89, v177, v89 quad_perm:[1,1,1,1] row_mask:0xf bank_mask:0xf// 000000009830: 06B2B2FA FF0055B1
	v_subrev_f32_dpp v90, v177, v90 quad_perm:[2,2,2,2] row_mask:0xf bank_mask:0xf// 000000009838: 06B4B4FA FF00AAB1
	v_subrev_f32_dpp v91, v177, v91 quad_perm:[3,3,3,3] row_mask:0xf bank_mask:0xf// 000000009840: 06B6B6FA FF00FFB1
	v_subrev_f32_dpp v92, v177, v92 quad_perm:[0,0,0,0] row_mask:0xf bank_mask:0xf// 000000009848: 06B8B8FA FF0000B1
	v_subrev_f32_dpp v93, v177, v93 quad_perm:[1,1,1,1] row_mask:0xf bank_mask:0xf// 000000009850: 06BABAFA FF0055B1
	v_mfma_f32_16x16x16_bf16 v[218:221], v[128:129], v[168:169], v[218:221]// 000000009858: D3E100DA 076B5180
	ds_write_b32 v20, v56 offset:22016                         // 000000009860: D81A5600 00003814
	ds_write_b32 v20, v57 offset:22560                         // 000000009868: D81A5820 00003914
	v_mfma_f32_16x16x16_bf16 v[222:225], v[130:131], v[168:169], v[222:225]// 000000009870: D3E100DE 077B5182
	v_subrev_f32_dpp v94, v177, v94 quad_perm:[2,2,2,2] row_mask:0xf bank_mask:0xf// 000000009878: 06BCBCFA FF00AAB1
	v_subrev_f32_dpp v95, v177, v95 quad_perm:[3,3,3,3] row_mask:0xf bank_mask:0xf// 000000009880: 06BEBEFA FF00FFB1
	v_subrev_f32_dpp v96, v177, v96 quad_perm:[0,0,0,0] row_mask:0xf bank_mask:0xf// 000000009888: 06C0C0FA FF0000B1
	v_subrev_f32_dpp v97, v177, v97 quad_perm:[1,1,1,1] row_mask:0xf bank_mask:0xf// 000000009890: 06C2C2FA FF0055B1
	v_subrev_f32_dpp v98, v177, v98 quad_perm:[2,2,2,2] row_mask:0xf bank_mask:0xf// 000000009898: 06C4C4FA FF00AAB1
	v_subrev_f32_dpp v99, v177, v99 quad_perm:[3,3,3,3] row_mask:0xf bank_mask:0xf// 0000000098A0: 06C6C6FA FF00FFB1
	v_mfma_f32_16x16x16_bf16 v[178:181], v[132:133], v[170:171], v[178:181]// 0000000098A8: D3E100B2 06CB5584
	v_mul_f32_e32 v88, v64, v88                                // 0000000098B0: 0AB0B140
	v_mul_f32_e32 v89, v65, v89                                // 0000000098B4: 0AB2B341
	v_mul_f32_e32 v90, v66, v90                                // 0000000098B8: 0AB4B542
	v_mul_f32_e32 v91, v67, v91                                // 0000000098BC: 0AB6B743
	v_mul_f32_e32 v92, v68, v92                                // 0000000098C0: 0AB8B944
	v_mul_f32_e32 v93, v69, v93                                // 0000000098C4: 0ABABB45
	v_mfma_f32_16x16x16_bf16 v[182:185], v[134:135], v[170:171], v[182:185]// 0000000098C8: D3E100B6 06DB5586
	v_mul_f32_e32 v94, v70, v94                                // 0000000098D0: 0ABCBD46
	v_mul_f32_e32 v95, v71, v95                                // 0000000098D4: 0ABEBF47
	v_mul_f32_e32 v96, v72, v96                                // 0000000098D8: 0AC0C148
	v_mul_f32_e32 v97, v73, v97                                // 0000000098DC: 0AC2C349
	v_mul_f32_e32 v98, v74, v98                                // 0000000098E0: 0AC4C54A
	v_mul_f32_e32 v99, v75, v99                                // 0000000098E4: 0AC6C74B
	v_mfma_f32_16x16x16_bf16 v[186:189], v[136:137], v[170:171], v[186:189]// 0000000098E8: D3E100BA 06EB5588
	v_cmp_u_f32_e64 s[74:75], v88, v88                         // 0000000098F0: D048004A 0002B158
	v_add3_u32 v226, v88, v229, 1                              // 0000000098F8: D1FF00E2 0207CB58
	v_cndmask_b32_e64 v32, v226, v228, s[74:75]                // 000000009900: D1000020 012BC9E2
	v_cmp_u_f32_e64 s[74:75], v89, v89                         // 000000009908: D048004A 0002B359
	v_add3_u32 v226, v89, v229, 1                              // 000000009910: D1FF00E2 0207CB59
	v_cndmask_b32_e64 v33, v226, v228, s[74:75]                // 000000009918: D1000021 012BC9E2
	v_perm_b32 v82, v33, v32, s64                              // 000000009920: D1ED0052 01024121
	v_cmp_u_f32_e64 s[74:75], v90, v90                         // 000000009928: D048004A 0002B55A
	v_add3_u32 v226, v90, v229, 1                              // 000000009930: D1FF00E2 0207CB5A
	v_cndmask_b32_e64 v32, v226, v228, s[74:75]                // 000000009938: D1000020 012BC9E2
	v_cmp_u_f32_e64 s[74:75], v91, v91                         // 000000009940: D048004A 0002B75B
	v_add3_u32 v226, v91, v229, 1                              // 000000009948: D1FF00E2 0207CB5B
	v_cndmask_b32_e64 v33, v226, v228, s[74:75]                // 000000009950: D1000021 012BC9E2
	v_perm_b32 v83, v33, v32, s64                              // 000000009958: D1ED0053 01024121
	v_cmp_u_f32_e64 s[74:75], v92, v92                         // 000000009960: D048004A 0002B95C
	v_add3_u32 v226, v92, v229, 1                              // 000000009968: D1FF00E2 0207CB5C
	v_cndmask_b32_e64 v32, v226, v228, s[74:75]                // 000000009970: D1000020 012BC9E2
	v_cmp_u_f32_e64 s[74:75], v93, v93                         // 000000009978: D048004A 0002BB5D
	v_add3_u32 v226, v93, v229, 1                              // 000000009980: D1FF00E2 0207CB5D
	v_cndmask_b32_e64 v33, v226, v228, s[74:75]                // 000000009988: D1000021 012BC9E2
	v_perm_b32 v84, v33, v32, s64                              // 000000009990: D1ED0054 01024121
	v_cmp_u_f32_e64 s[74:75], v94, v94                         // 000000009998: D048004A 0002BD5E
	v_add3_u32 v226, v94, v229, 1                              // 0000000099A0: D1FF00E2 0207CB5E
	v_cndmask_b32_e64 v32, v226, v228, s[74:75]                // 0000000099A8: D1000020 012BC9E2
	v_cmp_u_f32_e64 s[74:75], v95, v95                         // 0000000099B0: D048004A 0002BF5F
	v_add3_u32 v226, v95, v229, 1                              // 0000000099B8: D1FF00E2 0207CB5F
	v_cndmask_b32_e64 v33, v226, v228, s[74:75]                // 0000000099C0: D1000021 012BC9E2
	v_perm_b32 v85, v33, v32, s64                              // 0000000099C8: D1ED0055 01024121
	v_cmp_u_f32_e64 s[74:75], v96, v96                         // 0000000099D0: D048004A 0002C160
	v_add3_u32 v226, v96, v229, 1                              // 0000000099D8: D1FF00E2 0207CB60
	v_cndmask_b32_e64 v32, v226, v228, s[74:75]                // 0000000099E0: D1000020 012BC9E2
	v_cmp_u_f32_e64 s[74:75], v97, v97                         // 0000000099E8: D048004A 0002C361
	v_add3_u32 v226, v97, v229, 1                              // 0000000099F0: D1FF00E2 0207CB61
	v_cndmask_b32_e64 v33, v226, v228, s[74:75]                // 0000000099F8: D1000021 012BC9E2
	v_perm_b32 v86, v33, v32, s64                              // 000000009A00: D1ED0056 01024121
	v_cmp_u_f32_e64 s[74:75], v98, v98                         // 000000009A08: D048004A 0002C562
	v_add3_u32 v226, v98, v229, 1                              // 000000009A10: D1FF00E2 0207CB62
	v_cndmask_b32_e64 v32, v226, v228, s[74:75]                // 000000009A18: D1000020 012BC9E2
	v_cmp_u_f32_e64 s[74:75], v99, v99                         // 000000009A20: D048004A 0002C763
	v_add3_u32 v226, v99, v229, 1                              // 000000009A28: D1FF00E2 0207CB63
	v_cndmask_b32_e64 v33, v226, v228, s[74:75]                // 000000009A30: D1000021 012BC9E2
	v_perm_b32 v87, v33, v32, s64                              // 000000009A38: D1ED0057 01024121
	v_mfma_f32_16x16x16_bf16 v[190:193], v[138:139], v[170:171], v[190:193]// 000000009A40: D3E100BE 06FB558A
	v_mov_b32_dpp v18, v82 quad_perm:[1,0,3,2] row_mask:0xf bank_mask:0xf// 000000009A48: 7E2402FA FF00B152
	v_perm_b32 v58, v18, v82, v17                              // 000000009A50: D1ED003A 0446A512
	v_mov_b32_dpp v18, v83 quad_perm:[1,0,3,2] row_mask:0xf bank_mask:0xf// 000000009A58: 7E2402FA FF00B153
	v_perm_b32 v59, v18, v83, v17                              // 000000009A60: D1ED003B 0446A712
	v_mov_b32_dpp v18, v84 quad_perm:[1,0,3,2] row_mask:0xf bank_mask:0xf// 000000009A68: 7E2402FA FF00B154
	v_perm_b32 v60, v18, v84, v17                              // 000000009A70: D1ED003C 0446A912
	v_mfma_f32_16x16x16_bf16 v[194:197], v[132:133], v[172:173], v[194:197]// 000000009A78: D3E100C2 070B5984
	ds_write_b32 v20, v58 offset:24320                         // 000000009A80: D81A5F00 00003A14
	ds_write_b32 v20, v59 offset:24864                         // 000000009A88: D81A6120 00003B14
	v_mfma_f32_16x16x16_bf16 v[198:201], v[134:135], v[172:173], v[198:201]// 000000009A90: D3E100C6 071B5986
	v_mov_b32_dpp v18, v85 quad_perm:[1,0,3,2] row_mask:0xf bank_mask:0xf// 000000009A98: 7E2402FA FF00B155
	v_perm_b32 v61, v18, v85, v17                              // 000000009AA0: D1ED003D 0446AB12
	v_mov_b32_dpp v18, v86 quad_perm:[1,0,3,2] row_mask:0xf bank_mask:0xf// 000000009AA8: 7E2402FA FF00B156
	v_perm_b32 v62, v18, v86, v17                              // 000000009AB0: D1ED003E 0446AD12
	v_mov_b32_dpp v18, v87 quad_perm:[1,0,3,2] row_mask:0xf bank_mask:0xf// 000000009AB8: 7E2402FA FF00B157
	v_perm_b32 v63, v18, v87, v17                              // 000000009AC0: D1ED003F 0446AF12
	v_mfma_f32_16x16x16_bf16 v[202:205], v[136:137], v[172:173], v[202:205]// 000000009AC8: D3E100CA 072B5988
	ds_write_b32 v20, v60 offset:26624                         // 000000009AD0: D81A6800 00003C14
	ds_write_b32 v20, v61 offset:27168                         // 000000009AD8: D81A6A20 00003D14
	ds_write_b32 v20, v62 offset:28928                         // 000000009AE0: D81A7100 00003E14
	ds_write_b32 v20, v63 offset:29472                         // 000000009AE8: D81A7320 00003F14
	v_mfma_f32_16x16x16_bf16 v[206:209], v[138:139], v[172:173], v[206:209]// 000000009AF0: D3E100CE 073B598A
	v_mfma_f32_16x16x16_bf16 v[210:213], v[132:133], v[174:175], v[210:213]// 000000009AF8: D3E100D2 074B5D84
	ds_write_b32 v15, v100 offset:4352                         // 000000009B00: D81A1100 0000640F
	ds_write_b32 v15, v101 offset:5408                         // 000000009B08: D81A1520 0000650F
	v_mfma_f32_16x16x16_bf16 v[214:217], v[134:135], v[174:175], v[214:217]// 000000009B10: D3E100D6 075B5D86
	v_mfma_f32_16x16x16_bf16 v[218:221], v[136:137], v[174:175], v[218:221]// 000000009B18: D3E100DA 076B5D88
	ds_write_b32 v15, v102 offset:6528                         // 000000009B20: D81A1980 0000660F
	ds_write_b32 v15, v103 offset:7584                         // 000000009B28: D81A1DA0 0000670F
	v_mfma_f32_16x16x16_bf16 v[222:225], v[138:139], v[174:175], v[222:225]// 000000009B30: D3E100DE 077B5D8A
	s_nop 0                                                    // 000000009B38: BF800000
	s_nop 0                                                    // 000000009B3C: BF800000
	s_nop 0                                                    // 000000009B40: BF800000
	s_barrier                                                  // 000000009B44: BF8A0000
	v_mfma_f32_16x16x16_bf16 a[112:115], a[96:97], v[76:77], a[112:115]// 000000009B48: D3E18070 0DC29960
	ds_read_b32 v140, v23 offset:39424                         // 000000009B50: D86C9A00 8C000017
	ds_read_b32 v144, v23 offset:39488                         // 000000009B58: D86C9A40 90000017
	ds_read_b32 v176, v23 offset:39680                         // 000000009B60: D86C9B00 B0000017
	ds_read_b32 v177, v23 offset:39744                         // 000000009B68: D86C9B40 B1000017
	v_mfma_f32_16x16x16_bf16 a[116:119], a[98:99], v[76:77], a[116:119]// 000000009B70: D3E18074 0DD29962
	buffer_atomic_add_f32 v156, v6, s[32:35], 0 idxen          // 000000009B78: E1342000 80089C06
	v_mfma_f32_16x16x16_bf16 a[120:123], a[100:101], v[76:77], a[120:123]// 000000009B80: D3E18078 0DE29964
	s_waitcnt lgkmcnt(8)                                       // 000000009B88: BF8CC87F
	s_barrier                                                  // 000000009B8C: BF8A0000
	v_mfma_f32_16x16x16_bf16 a[124:127], a[102:103], v[76:77], a[124:127]// 000000009B90: D3E1807C 0DF29966
	v_mfma_f32_16x16x16_bf16 a[128:131], a[96:97], v[78:79], a[128:131]// 000000009B98: D3E18080 0E029D60
	ds_read_b128 v[52:55], v19 offset:17408                    // 000000009BA0: D9FE4400 34000013
	v_mfma_f32_16x16x16_bf16 a[132:135], a[98:99], v[78:79], a[132:135]// 000000009BA8: D3E18084 0E129D62
	v_mfma_f32_16x16x16_bf16 a[136:139], a[100:101], v[78:79], a[136:139]// 000000009BB0: D3E18088 0E229D64
	ds_read_b128 v[56:59], v19 offset:18560                    // 000000009BB8: D9FE4880 38000013
	v_mfma_f32_16x16x16_bf16 a[140:143], a[102:103], v[78:79], a[140:143]// 000000009BC0: D3E1808C 0E329D66
	buffer_atomic_add_f32 v157, v7, s[32:35], 0 idxen          // 000000009BC8: E1342000 80089D07
	v_mfma_f32_16x16x16_bf16 a[144:147], a[96:97], v[80:81], a[144:147]// 000000009BD0: D3E18090 0E42A160
	ds_read_b128 v[60:63], v19 offset:19712                    // 000000009BD8: D9FE4D00 3C000013
	v_mfma_f32_16x16x16_bf16 a[148:151], a[98:99], v[80:81], a[148:151]// 000000009BE0: D3E18094 0E52A162
	v_mfma_f32_16x16x16_bf16 a[152:155], a[100:101], v[80:81], a[152:155]// 000000009BE8: D3E18098 0E62A164
	ds_read_b128 v[64:67], v19 offset:20864                    // 000000009BF0: D9FE5180 40000013
	v_mfma_f32_16x16x16_bf16 a[156:159], a[102:103], v[80:81], a[156:159]// 000000009BF8: D3E1809C 0E72A166
	v_mfma_f32_16x16x16_bf16 a[112:115], a[104:105], v[82:83], a[112:115]// 000000009C00: D3E18070 0DC2A568
	ds_read_b128 v[68:71], v19 offset:22016                    // 000000009C08: D9FE5600 44000013
	v_mfma_f32_16x16x16_bf16 a[116:119], a[106:107], v[82:83], a[116:119]// 000000009C10: D3E18074 0DD2A56A
	buffer_atomic_add_f32 v158, v6, s[32:35], 0 idxen offset:128// 000000009C18: E1342080 80089E06
	v_mfma_f32_16x16x16_bf16 a[120:123], a[108:109], v[82:83], a[120:123]// 000000009C20: D3E18078 0DE2A56C
	ds_read_b128 v[72:75], v19 offset:23168                    // 000000009C28: D9FE5A80 48000013
	v_mfma_f32_16x16x16_bf16 a[124:127], a[110:111], v[82:83], a[124:127]// 000000009C30: D3E1807C 0DF2A56E
	v_mfma_f32_16x16x16_bf16 a[128:131], a[104:105], v[84:85], a[128:131]// 000000009C38: D3E18080 0E02A968
	ds_write_b32 v15, v104 offset:13056                        // 000000009C40: D81A3300 0000680F
	v_mfma_f32_16x16x16_bf16 a[132:135], a[106:107], v[84:85], a[132:135]// 000000009C48: D3E18084 0E12A96A
	v_mfma_f32_16x16x16_bf16 a[136:139], a[108:109], v[84:85], a[136:139]// 000000009C50: D3E18088 0E22A96C
	ds_write_b32 v15, v105 offset:14112                        // 000000009C58: D81A3720 0000690F
	v_mfma_f32_16x16x16_bf16 a[140:143], a[110:111], v[84:85], a[140:143]// 000000009C60: D3E1808C 0E32A96E
	buffer_atomic_add_f32 v159, v7, s[32:35], 0 idxen offset:128// 000000009C68: E1342080 80089F07
	v_mfma_f32_16x16x16_bf16 a[144:147], a[104:105], v[86:87], a[144:147]// 000000009C70: D3E18090 0E42AD68
	ds_write_b32 v15, v106 offset:15232                        // 000000009C78: D81A3B80 00006A0F
	v_mfma_f32_16x16x16_bf16 a[148:151], a[106:107], v[86:87], a[148:151]// 000000009C80: D3E18094 0E52AD6A
	v_mfma_f32_16x16x16_bf16 a[152:155], a[108:109], v[86:87], a[152:155]// 000000009C88: D3E18098 0E62AD6C
	ds_write_b32 v15, v107 offset:16288                        // 000000009C90: D81A3FA0 00006B0F
	v_mfma_f32_16x16x16_bf16 a[156:159], a[110:111], v[86:87], a[156:159]// 000000009C98: D3E1809C 0E72AD6E
	s_waitcnt vmcnt(8) lgkmcnt(4)                              // 000000009CA0: BF8C0478
	s_barrier                                                  // 000000009CA4: BF8A0000
	v_mfma_f32_16x16x16_bf16 v[148:151], v[52:53], a[24:25], 0 // 000000009CA8: D3E10094 12023134
	ds_read_b128 a[96:99], v12                                 // 000000009CB0: DBFE0000 6000000C
	buffer_load_dword v36, v1, s[8:11], 0 idxen                // 000000009CB8: E0502000 80022401
	v_mfma_f32_16x16x16_bf16 v[148:151], v[54:55], a[28:29], v[148:151]// 000000009CC0: D3E10094 16523936
	v_mul_f32_e32 v140, s48, v140                              // 000000009CC8: 0B191830
	v_mul_f32_e32 v144, s48, v144                              // 000000009CCC: 0B212030
	s_nop 0                                                    // 000000009CD0: BF800000
	v_mfma_f32_16x16x16_bf16 v[148:151], v[56:57], a[32:33], v[148:151]// 000000009CD4: D3E10094 16524138
	ds_read_b128 a[100:103], v12 offset:512                    // 000000009CDC: DBFE0200 6400000C
	buffer_load_dword v37, v2, s[8:11], 0 idxen                // 000000009CE4: E0502000 80022502
	v_mfma_f32_16x16x16_bf16 v[148:151], v[58:59], a[36:37], v[148:151]// 000000009CEC: D3E10094 1652493A
	v_mfma_f32_16x16x16_bf16 v[148:151], v[60:61], a[40:41], v[148:151]// 000000009CF4: D3E10094 1652513C
	ds_read_b128 a[104:107], v12 offset:2176                   // 000000009CFC: DBFE0880 6800000C
	buffer_load_dword v38, v3, s[8:11], 0 idxen                // 000000009D04: E0502000 80022603
	v_mfma_f32_16x16x16_bf16 v[148:151], v[62:63], a[44:45], v[148:151]// 000000009D0C: D3E10094 1652593E
	v_perm_b32 v100, v41, v40, s63                             // 000000009D14: D1ED0064 00FE5129
	v_perm_b32 v101, v41, v40, s64                             // 000000009D1C: D1ED0065 01025129
	v_mfma_f32_16x16x16_bf16 v[148:151], v[64:65], a[48:49], v[148:151]// 000000009D24: D3E10094 16526140
	ds_read_b128 a[108:111], v12 offset:2688                   // 000000009D2C: DBFE0A80 6C00000C
	buffer_load_dword v39, v4, s[8:11], 0 idxen                // 000000009D34: E0502000 80022704
	v_mfma_f32_16x16x16_bf16 v[148:151], v[66:67], a[52:53], v[148:151]// 000000009D3C: D3E10094 16526942
	v_perm_b32 v102, v43, v42, s63                             // 000000009D44: D1ED0066 00FE552B
	v_perm_b32 v103, v43, v42, s64                             // 000000009D4C: D1ED0067 0102552B
	v_mfma_f32_16x16x16_bf16 v[148:151], v[68:69], a[56:57], v[148:151]// 000000009D54: D3E10094 16527144
	ds_read_b128 v[108:111], v12 offset:8704                   // 000000009D5C: D9FE2200 6C00000C
	buffer_load_dword v44, v231, s[20:23], 0 idxen             // 000000009D64: E0502000 80052CE7
	v_mfma_f32_16x16x16_bf16 v[148:151], v[70:71], a[60:61], v[148:151]// 000000009D6C: D3E10094 16527946
	v_perm_b32 v104, v49, v48, s63                             // 000000009D74: D1ED0068 00FE6131
	v_perm_b32 v105, v49, v48, s64                             // 000000009D7C: D1ED0069 01026131
	v_mfma_f32_16x16x16_bf16 v[148:151], v[72:73], a[64:65], v[148:151]// 000000009D84: D3E10094 16528148
	ds_read_b128 v[112:115], v12 offset:9216                   // 000000009D8C: D9FE2400 7000000C
	buffer_load_dword v45, v232, s[20:23], 0 idxen             // 000000009D94: E0502000 80052DE8
	v_mfma_f32_16x16x16_bf16 v[148:151], v[74:75], a[68:69], v[148:151]// 000000009D9C: D3E10094 1652894A
	v_perm_b32 v106, v51, v50, s63                             // 000000009DA4: D1ED006A 00FE6533
	v_perm_b32 v107, v51, v50, s64                             // 000000009DAC: D1ED006B 01026533
	v_mfma_f32_16x16x16_bf16 v[152:155], v[52:53], a[26:27], 0 // 000000009DB4: D3E10098 12023534
	ds_read_b128 v[116:119], v12 offset:10880                  // 000000009DBC: D9FE2A80 7400000C
	buffer_load_dword v46, v233, s[20:23], 0 idxen             // 000000009DC4: E0502000 80052EE9
	v_mfma_f32_16x16x16_bf16 v[152:155], v[54:55], a[30:31], v[152:155]// 000000009DCC: D3E10098 16623D36
	v_mov_b32_dpp v143, v140 quad_perm:[3,3,3,3] row_mask:0xf bank_mask:0xf// 000000009DD4: 7F1E02FA FF00FF8C
	v_mov_b32_dpp v142, v140 quad_perm:[2,2,2,2] row_mask:0xf bank_mask:0xf// 000000009DDC: 7F1C02FA FF00AA8C
	v_mov_b32_dpp v141, v140 quad_perm:[1,1,1,1] row_mask:0xf bank_mask:0xf// 000000009DE4: 7F1A02FA FF00558C
	v_mov_b32_dpp v140, v140 quad_perm:[0,0,0,0] row_mask:0xf bank_mask:0xf// 000000009DEC: 7F1802FA FF00008C
	v_mfma_f32_16x16x16_bf16 v[152:155], v[56:57], a[34:35], v[152:155]// 000000009DF4: D3E10098 16624538
	ds_read_b128 v[120:123], v12 offset:11392                  // 000000009DFC: D9FE2C80 7800000C
	buffer_load_dword v47, v234, s[20:23], 0 idxen             // 000000009E04: E0502000 80052FEA
	v_mfma_f32_16x16x16_bf16 v[152:155], v[58:59], a[38:39], v[152:155]// 000000009E0C: D3E10098 16624D3A
	v_mov_b32_dpp v147, v144 quad_perm:[3,3,3,3] row_mask:0xf bank_mask:0xf// 000000009E14: 7F2602FA FF00FF90
	v_mov_b32_dpp v146, v144 quad_perm:[2,2,2,2] row_mask:0xf bank_mask:0xf// 000000009E1C: 7F2402FA FF00AA90
	v_mov_b32_dpp v145, v144 quad_perm:[1,1,1,1] row_mask:0xf bank_mask:0xf// 000000009E24: 7F2202FA FF005590
	v_mov_b32_dpp v144, v144 quad_perm:[0,0,0,0] row_mask:0xf bank_mask:0xf// 000000009E2C: 7F2002FA FF000090
	s_add_u32 s60, 0x80, s59                                   // 000000009E34: 803C3BFF 00000080
	v_mfma_f32_16x16x16_bf16 v[152:155], v[60:61], a[42:43], v[152:155]// 000000009E3C: D3E10098 1662553C
	buffer_load_dword v11, s[24:27], 0 idxen lds               // 000000009E44: E0512000 8006000B
	v_mfma_f32_16x16x16_bf16 v[152:155], v[62:63], a[46:47], v[152:155]// 000000009E4C: D3E10098 16625D3E
	s_cmp_lt_u32 s60, s58                                      // 000000009E54: BF0A3A3C
	s_cselect_b32 s68, s68, 0                                  // 000000009E58: 85448044
	s_cselect_b32 s81, s81, 0                                  // 000000009E5C: 85518051
	s_cselect_b32 s69, s69, 0                                  // 000000009E60: 85458045
	v_mfma_f32_16x16x16_bf16 v[152:155], v[64:65], a[50:51], v[152:155]// 000000009E64: D3E10098 16626540
	v_add_u32_e32 v1, s68, v1                                  // 000000009E6C: 68020244
	v_add_u32_e32 v2, s68, v2                                  // 000000009E70: 68040444
	v_add_u32_e32 v3, s68, v3                                  // 000000009E74: 68060644
	v_add_u32_e32 v4, s68, v4                                  // 000000009E78: 68080844
	v_mfma_f32_16x16x16_bf16 v[152:155], v[66:67], a[54:55], v[152:155]// 000000009E7C: D3E10098 16626D42
	v_add_u32_e32 v231, s81, v231                              // 000000009E84: 69CFCE51
	v_add_u32_e32 v232, s81, v232                              // 000000009E88: 69D1D051
	v_add_u32_e32 v233, s81, v233                              // 000000009E8C: 69D3D251
	v_add_u32_e32 v234, s81, v234                              // 000000009E90: 69D5D451
	v_mfma_f32_16x16x16_bf16 v[152:155], v[68:69], a[58:59], v[152:155]// 000000009E94: D3E10098 16627544
	s_mov_b32 m0, s77                                          // 000000009E9C: BEFC004D
	v_add_u32_e32 v11, s69, v11                                // 000000009EA0: 68161645
	v_mfma_f32_16x16x16_bf16 v[152:155], v[70:71], a[62:63], v[152:155]// 000000009EA4: D3E10098 16627D46
	s_cmp_ge_u32 s59, 32                                       // 000000009EAC: BF09A03B
	s_cselect_b32 s66, s67, s66                                // 000000009EB0: 85424243
	v_mfma_f32_16x16x16_bf16 v[152:155], v[72:73], a[66:67], v[152:155]// 000000009EB4: D3E10098 16628548
	s_addk_i32 s59, 0x20                                       // 000000009EBC: B73B0020
	s_nop 0                                                    // 000000009EC0: BF800000
	s_cmp_lt_i32 s59, s58                                      // 000000009EC4: BF043A3B
	v_mfma_f32_16x16x16_bf16 v[152:155], v[74:75], a[70:71], v[152:155]// 000000009EC8: D3E10098 16628D4A
	s_cbranch_scc0 label_0F02                                  // 000000009ED0: BF84F73B
	s_branch label_0F05                                        // 000000009ED4: BF82F73D

0000000000009ed8 <label_17DA>:
	buffer_atomic_add_f32 v160, v8, s[32:35], 0 idxen          // 000000009ED8: E1342000 8008A008
	buffer_atomic_add_f32 v161, v9, s[32:35], 0 idxen          // 000000009EE0: E1342000 8008A109
	buffer_atomic_add_f32 v162, v8, s[32:35], 0 idxen offset:128// 000000009EE8: E1342080 8008A208
	buffer_atomic_add_f32 v163, v9, s[32:35], 0 idxen offset:128// 000000009EF0: E1342080 8008A309
	v_add_u32_e32 v6, s66, v6                                  // 000000009EF8: 680C0C42
	v_add_u32_e32 v7, s66, v7                                  // 000000009EFC: 680E0E42
	v_add_u32_e32 v8, s66, v8                                  // 000000009F00: 68101042
	v_add_u32_e32 v9, s66, v9                                  // 000000009F04: 68121242
	v_lshrrev_b32_e32 v32, 5, v0                               // 000000009F08: 20400085
	v_mul_i32_i24_e32 v27, 0x44, v32                           // 000000009F0C: 0C3640FF 00000044
	v_and_b32_e32 v32, 31, v0                                  // 000000009F14: 2640009F
	v_mul_i32_i24_e32 v33, 2, v32                              // 000000009F18: 0C424082
	v_add_u32_e32 v27, v33, v27                                // 000000009F1C: 68363721
	s_mul_i32 s60, s46, 0x220                                  // 000000009F20: 923CFF2E 00000220
	v_add_u32_e32 v27, s60, v27                                // 000000009F28: 6836363C
	v_lshlrev_b32_e32 v27, 2, v27                              // 000000009F2C: 24363682
	v_mul_f32_e32 v148, s47, v148                              // 000000009F30: 0B29282F
	v_mul_f32_e32 v149, s47, v149                              // 000000009F34: 0B2B2A2F
	v_mul_f32_e32 v150, s47, v150                              // 000000009F38: 0B2D2C2F
	v_mul_f32_e32 v151, s47, v151                              // 000000009F3C: 0B2F2E2F
	v_mul_f32_e32 v152, s47, v152                              // 000000009F40: 0B31302F
	v_mul_f32_e32 v153, s47, v153                              // 000000009F44: 0B33322F
	v_mul_f32_e32 v154, s47, v154                              // 000000009F48: 0B35342F
	v_mul_f32_e32 v155, s47, v155                              // 000000009F4C: 0B37362F
	ds_write_b64 v22, v[148:149] offset:31232                  // 000000009F50: D89A7A00 00009416
	ds_write_b64 v22, v[150:151] offset:31744                  // 000000009F58: D89A7C00 00009616
	ds_write_b64 v22, v[152:153] offset:32256                  // 000000009F60: D89A7E00 00009816
	ds_write_b64 v22, v[154:155] offset:32768                  // 000000009F68: D89A8000 00009A16
	s_waitcnt lgkmcnt(0)                                       // 000000009F70: BF8CC07F
	s_barrier                                                  // 000000009F74: BF8A0000
	ds_read_b64 v[156:157], v21 offset:31232                   // 000000009F78: D8EC7A00 9C000015
	ds_read_b64 v[158:159], v21 offset:33280                   // 000000009F80: D8EC8200 9E000015
	ds_read_b64 v[160:161], v21 offset:35328                   // 000000009F88: D8EC8A00 A0000015
	ds_read_b64 v[162:163], v21 offset:37376                   // 000000009F90: D8EC9200 A2000015
	s_waitcnt lgkmcnt(0)                                       // 000000009F98: BF8CC07F
	s_barrier                                                  // 000000009F9C: BF8A0000
	buffer_atomic_add_f32 v156, v6, s[32:35], 0 idxen          // 000000009FA0: E1342000 80089C06
	buffer_atomic_add_f32 v157, v7, s[32:35], 0 idxen          // 000000009FA8: E1342000 80089D07
	buffer_atomic_add_f32 v158, v6, s[32:35], 0 idxen offset:128// 000000009FB0: E1342080 80089E06
	buffer_atomic_add_f32 v159, v7, s[32:35], 0 idxen offset:128// 000000009FB8: E1342080 80089F07
	buffer_atomic_add_f32 v160, v8, s[32:35], 0 idxen          // 000000009FC0: E1342000 8008A008
	buffer_atomic_add_f32 v161, v9, s[32:35], 0 idxen          // 000000009FC8: E1342000 8008A109
	buffer_atomic_add_f32 v162, v8, s[32:35], 0 idxen offset:128// 000000009FD0: E1342080 8008A208
	buffer_atomic_add_f32 v163, v9, s[32:35], 0 idxen offset:128// 000000009FD8: E1342080 8008A309
	v_lshrrev_b32_e32 v32, 3, v0                               // 000000009FE0: 20400083
	v_mul_i32_i24_e32 v26, 2, v32                              // 000000009FE4: 0C344082
	v_and_b32_e32 v32, 7, v0                                   // 000000009FE8: 26400087
	v_mul_i32_i24_e32 v33, 0x44, v32                           // 000000009FEC: 0C4240FF 00000044
	v_add_u32_e32 v26, v33, v26                                // 000000009FF4: 68343521
	s_mul_i32 s60, s46, 0x220                                  // 000000009FF8: 923CFF2E 00000220
	v_add_u32_e32 v26, s60, v26                                // 00000000A000: 6834343C
	v_lshlrev_b32_e32 v26, 2, v26                              // 00000000A004: 24343482
	v_accvgpr_read_b32 v34, a112                               // 00000000A008: D3D84022 18000170
	v_accvgpr_read_b32 v35, a113                               // 00000000A010: D3D84023 18000171
	v_mul_f32_e32 v34, s47, v34                                // 00000000A018: 0A44442F
	v_mul_f32_e32 v35, s47, v35                                // 00000000A01C: 0A46462F
	v_cmp_u_f32_e64 s[74:75], v34, v34                         // 00000000A020: D048004A 00024522
	v_bfe_u32 v226, v34, 16, 1                                 // 00000000A028: D1C800E2 02052122
	v_add3_u32 v226, v34, v226, v229                           // 00000000A030: D1FF00E2 0797C522
	v_cndmask_b32_e64 v32, v226, v228, s[74:75]                // 00000000A038: D1000020 012BC9E2
	v_lshrrev_b32_e32 v32, 16, v32                             // 00000000A040: 20404090
	v_cmp_u_f32_e64 s[74:75], v35, v35                         // 00000000A044: D048004A 00024723
	v_bfe_u32 v226, v35, 16, 1                                 // 00000000A04C: D1C800E2 02052123
	v_add3_u32 v226, v35, v226, v229                           // 00000000A054: D1FF00E2 0797C523
	v_cndmask_b32_e64 v33, v226, v228, s[74:75]                // 00000000A05C: D1000021 012BC9E2
	v_and_or_b32 v52, v33, v227, v32                           // 00000000A064: D2010034 0483C721
	v_accvgpr_read_b32 v34, a114                               // 00000000A06C: D3D84022 18000172
	v_accvgpr_read_b32 v35, a115                               // 00000000A074: D3D84023 18000173
	v_mul_f32_e32 v34, s47, v34                                // 00000000A07C: 0A44442F
	v_mul_f32_e32 v35, s47, v35                                // 00000000A080: 0A46462F
	v_cmp_u_f32_e64 s[74:75], v34, v34                         // 00000000A084: D048004A 00024522
	v_bfe_u32 v226, v34, 16, 1                                 // 00000000A08C: D1C800E2 02052122
	v_add3_u32 v226, v34, v226, v229                           // 00000000A094: D1FF00E2 0797C522
	v_cndmask_b32_e64 v32, v226, v228, s[74:75]                // 00000000A09C: D1000020 012BC9E2
	v_lshrrev_b32_e32 v32, 16, v32                             // 00000000A0A4: 20404090
	v_cmp_u_f32_e64 s[74:75], v35, v35                         // 00000000A0A8: D048004A 00024723
	v_bfe_u32 v226, v35, 16, 1                                 // 00000000A0B0: D1C800E2 02052123
	v_add3_u32 v226, v35, v226, v229                           // 00000000A0B8: D1FF00E2 0797C523
	v_cndmask_b32_e64 v33, v226, v228, s[74:75]                // 00000000A0C0: D1000021 012BC9E2
	v_and_or_b32 v53, v33, v227, v32                           // 00000000A0C8: D2010035 0483C721
	v_accvgpr_read_b32 v34, a116                               // 00000000A0D0: D3D84022 18000174
	v_accvgpr_read_b32 v35, a117                               // 00000000A0D8: D3D84023 18000175
	v_mul_f32_e32 v34, s47, v34                                // 00000000A0E0: 0A44442F
	v_mul_f32_e32 v35, s47, v35                                // 00000000A0E4: 0A46462F
	v_cmp_u_f32_e64 s[74:75], v34, v34                         // 00000000A0E8: D048004A 00024522
	v_bfe_u32 v226, v34, 16, 1                                 // 00000000A0F0: D1C800E2 02052122
	v_add3_u32 v226, v34, v226, v229                           // 00000000A0F8: D1FF00E2 0797C522
	v_cndmask_b32_e64 v32, v226, v228, s[74:75]                // 00000000A100: D1000020 012BC9E2
	v_lshrrev_b32_e32 v32, 16, v32                             // 00000000A108: 20404090
	v_cmp_u_f32_e64 s[74:75], v35, v35                         // 00000000A10C: D048004A 00024723
	v_bfe_u32 v226, v35, 16, 1                                 // 00000000A114: D1C800E2 02052123
	v_add3_u32 v226, v35, v226, v229                           // 00000000A11C: D1FF00E2 0797C523
	v_cndmask_b32_e64 v33, v226, v228, s[74:75]                // 00000000A124: D1000021 012BC9E2
	v_and_or_b32 v54, v33, v227, v32                           // 00000000A12C: D2010036 0483C721
	v_accvgpr_read_b32 v34, a118                               // 00000000A134: D3D84022 18000176
	v_accvgpr_read_b32 v35, a119                               // 00000000A13C: D3D84023 18000177
	v_mul_f32_e32 v34, s47, v34                                // 00000000A144: 0A44442F
	v_mul_f32_e32 v35, s47, v35                                // 00000000A148: 0A46462F
	v_cmp_u_f32_e64 s[74:75], v34, v34                         // 00000000A14C: D048004A 00024522
	v_bfe_u32 v226, v34, 16, 1                                 // 00000000A154: D1C800E2 02052122
	v_add3_u32 v226, v34, v226, v229                           // 00000000A15C: D1FF00E2 0797C522
	v_cndmask_b32_e64 v32, v226, v228, s[74:75]                // 00000000A164: D1000020 012BC9E2
	v_lshrrev_b32_e32 v32, 16, v32                             // 00000000A16C: 20404090
	v_cmp_u_f32_e64 s[74:75], v35, v35                         // 00000000A170: D048004A 00024723
	v_bfe_u32 v226, v35, 16, 1                                 // 00000000A178: D1C800E2 02052123
	v_add3_u32 v226, v35, v226, v229                           // 00000000A180: D1FF00E2 0797C523
	v_cndmask_b32_e64 v33, v226, v228, s[74:75]                // 00000000A188: D1000021 012BC9E2
	v_and_or_b32 v55, v33, v227, v32                           // 00000000A190: D2010037 0483C721
	v_accvgpr_read_b32 v34, a120                               // 00000000A198: D3D84022 18000178
	v_accvgpr_read_b32 v35, a121                               // 00000000A1A0: D3D84023 18000179
	v_mul_f32_e32 v34, s47, v34                                // 00000000A1A8: 0A44442F
	v_mul_f32_e32 v35, s47, v35                                // 00000000A1AC: 0A46462F
	v_cmp_u_f32_e64 s[74:75], v34, v34                         // 00000000A1B0: D048004A 00024522
	v_bfe_u32 v226, v34, 16, 1                                 // 00000000A1B8: D1C800E2 02052122
	v_add3_u32 v226, v34, v226, v229                           // 00000000A1C0: D1FF00E2 0797C522
	v_cndmask_b32_e64 v32, v226, v228, s[74:75]                // 00000000A1C8: D1000020 012BC9E2
	v_lshrrev_b32_e32 v32, 16, v32                             // 00000000A1D0: 20404090
	v_cmp_u_f32_e64 s[74:75], v35, v35                         // 00000000A1D4: D048004A 00024723
	v_bfe_u32 v226, v35, 16, 1                                 // 00000000A1DC: D1C800E2 02052123
	v_add3_u32 v226, v35, v226, v229                           // 00000000A1E4: D1FF00E2 0797C523
	v_cndmask_b32_e64 v33, v226, v228, s[74:75]                // 00000000A1EC: D1000021 012BC9E2
	v_and_or_b32 v56, v33, v227, v32                           // 00000000A1F4: D2010038 0483C721
	v_accvgpr_read_b32 v34, a122                               // 00000000A1FC: D3D84022 1800017A
	v_accvgpr_read_b32 v35, a123                               // 00000000A204: D3D84023 1800017B
	v_mul_f32_e32 v34, s47, v34                                // 00000000A20C: 0A44442F
	v_mul_f32_e32 v35, s47, v35                                // 00000000A210: 0A46462F
	v_cmp_u_f32_e64 s[74:75], v34, v34                         // 00000000A214: D048004A 00024522
	v_bfe_u32 v226, v34, 16, 1                                 // 00000000A21C: D1C800E2 02052122
	v_add3_u32 v226, v34, v226, v229                           // 00000000A224: D1FF00E2 0797C522
	v_cndmask_b32_e64 v32, v226, v228, s[74:75]                // 00000000A22C: D1000020 012BC9E2
	v_lshrrev_b32_e32 v32, 16, v32                             // 00000000A234: 20404090
	v_cmp_u_f32_e64 s[74:75], v35, v35                         // 00000000A238: D048004A 00024723
	v_bfe_u32 v226, v35, 16, 1                                 // 00000000A240: D1C800E2 02052123
	v_add3_u32 v226, v35, v226, v229                           // 00000000A248: D1FF00E2 0797C523
	v_cndmask_b32_e64 v33, v226, v228, s[74:75]                // 00000000A250: D1000021 012BC9E2
	v_and_or_b32 v57, v33, v227, v32                           // 00000000A258: D2010039 0483C721
	v_accvgpr_read_b32 v34, a124                               // 00000000A260: D3D84022 1800017C
	v_accvgpr_read_b32 v35, a125                               // 00000000A268: D3D84023 1800017D
	v_mul_f32_e32 v34, s47, v34                                // 00000000A270: 0A44442F
	v_mul_f32_e32 v35, s47, v35                                // 00000000A274: 0A46462F
	v_cmp_u_f32_e64 s[74:75], v34, v34                         // 00000000A278: D048004A 00024522
	v_bfe_u32 v226, v34, 16, 1                                 // 00000000A280: D1C800E2 02052122
	v_add3_u32 v226, v34, v226, v229                           // 00000000A288: D1FF00E2 0797C522
	v_cndmask_b32_e64 v32, v226, v228, s[74:75]                // 00000000A290: D1000020 012BC9E2
	v_lshrrev_b32_e32 v32, 16, v32                             // 00000000A298: 20404090
	v_cmp_u_f32_e64 s[74:75], v35, v35                         // 00000000A29C: D048004A 00024723
	v_bfe_u32 v226, v35, 16, 1                                 // 00000000A2A4: D1C800E2 02052123
	v_add3_u32 v226, v35, v226, v229                           // 00000000A2AC: D1FF00E2 0797C523
	v_cndmask_b32_e64 v33, v226, v228, s[74:75]                // 00000000A2B4: D1000021 012BC9E2
	v_and_or_b32 v58, v33, v227, v32                           // 00000000A2BC: D201003A 0483C721
	v_accvgpr_read_b32 v34, a126                               // 00000000A2C4: D3D84022 1800017E
	v_accvgpr_read_b32 v35, a127                               // 00000000A2CC: D3D84023 1800017F
	v_mul_f32_e32 v34, s47, v34                                // 00000000A2D4: 0A44442F
	v_mul_f32_e32 v35, s47, v35                                // 00000000A2D8: 0A46462F
	v_cmp_u_f32_e64 s[74:75], v34, v34                         // 00000000A2DC: D048004A 00024522
	v_bfe_u32 v226, v34, 16, 1                                 // 00000000A2E4: D1C800E2 02052122
	v_add3_u32 v226, v34, v226, v229                           // 00000000A2EC: D1FF00E2 0797C522
	v_cndmask_b32_e64 v32, v226, v228, s[74:75]                // 00000000A2F4: D1000020 012BC9E2
	v_lshrrev_b32_e32 v32, 16, v32                             // 00000000A2FC: 20404090
	v_cmp_u_f32_e64 s[74:75], v35, v35                         // 00000000A300: D048004A 00024723
	v_bfe_u32 v226, v35, 16, 1                                 // 00000000A308: D1C800E2 02052123
	v_add3_u32 v226, v35, v226, v229                           // 00000000A310: D1FF00E2 0797C523
	v_cndmask_b32_e64 v33, v226, v228, s[74:75]                // 00000000A318: D1000021 012BC9E2
	v_and_or_b32 v59, v33, v227, v32                           // 00000000A320: D201003B 0483C721
	ds_write_b64 v27, v[52:53]                                 // 00000000A328: D89A0000 0000341B
	ds_write_b64 v27, v[54:55] offset:544                      // 00000000A330: D89A0220 0000361B
	ds_write_b64 v27, v[56:57] offset:1088                     // 00000000A338: D89A0440 0000381B
	ds_write_b64 v27, v[58:59] offset:1632                     // 00000000A340: D89A0660 00003A1B
	s_waitcnt lgkmcnt(0)                                       // 00000000A348: BF8CC07F
	s_barrier                                                  // 00000000A34C: BF8A0000
	ds_read_b64 v[52:53], v26                                  // 00000000A350: D8EC0000 3400001A
	ds_read_b64 v[54:55], v26 offset:128                       // 00000000A358: D8EC0080 3600001A
	ds_read_b64 v[56:57], v26 offset:64                        // 00000000A360: D8EC0040 3800001A
	ds_read_b64 v[58:59], v26 offset:192                       // 00000000A368: D8EC00C0 3A00001A
	s_waitcnt lgkmcnt(0)                                       // 00000000A370: BF8CC07F
	s_mov_b32 s70, s52                                         // 00000000A374: BEC60034
	buffer_store_dwordx4 v[52:55], v5, s[36:39], 0 idxen       // 00000000A378: E07C2000 80093405
	s_mul_i32 s60, 2, s70                                      // 00000000A380: 923C4682
	v_add_u32_e32 v5, s60, v5                                  // 00000000A384: 680A0A3C
	buffer_store_dwordx4 v[56:59], v5, s[36:39], 0 idxen       // 00000000A388: E07C2000 80093805
	s_mul_i32 s60, 2, s70                                      // 00000000A390: 923C4682
	v_add_u32_e32 v5, s60, v5                                  // 00000000A394: 680A0A3C
	s_mul_i32 s60, 12, s70                                     // 00000000A398: 923C468C
	v_add_u32_e32 v5, s60, v5                                  // 00000000A39C: 680A0A3C
	s_barrier                                                  // 00000000A3A0: BF8A0000
	s_cmp_ge_i32 1, s73                                        // 00000000A3A4: BF034981
	s_cbranch_scc1 label_1AE1                                  // 00000000A3A8: BF8501D2
	v_accvgpr_read_b32 v34, a128                               // 00000000A3AC: D3D84022 18000180
	v_accvgpr_read_b32 v35, a129                               // 00000000A3B4: D3D84023 18000181
	v_mul_f32_e32 v34, s47, v34                                // 00000000A3BC: 0A44442F
	v_mul_f32_e32 v35, s47, v35                                // 00000000A3C0: 0A46462F
	v_cmp_u_f32_e64 s[74:75], v34, v34                         // 00000000A3C4: D048004A 00024522
	v_bfe_u32 v226, v34, 16, 1                                 // 00000000A3CC: D1C800E2 02052122
	v_add3_u32 v226, v34, v226, v229                           // 00000000A3D4: D1FF00E2 0797C522
	v_cndmask_b32_e64 v32, v226, v228, s[74:75]                // 00000000A3DC: D1000020 012BC9E2
	v_lshrrev_b32_e32 v32, 16, v32                             // 00000000A3E4: 20404090
	v_cmp_u_f32_e64 s[74:75], v35, v35                         // 00000000A3E8: D048004A 00024723
	v_bfe_u32 v226, v35, 16, 1                                 // 00000000A3F0: D1C800E2 02052123
	v_add3_u32 v226, v35, v226, v229                           // 00000000A3F8: D1FF00E2 0797C523
	v_cndmask_b32_e64 v33, v226, v228, s[74:75]                // 00000000A400: D1000021 012BC9E2
	v_and_or_b32 v60, v33, v227, v32                           // 00000000A408: D201003C 0483C721
	v_accvgpr_read_b32 v34, a130                               // 00000000A410: D3D84022 18000182
	v_accvgpr_read_b32 v35, a131                               // 00000000A418: D3D84023 18000183
	v_mul_f32_e32 v34, s47, v34                                // 00000000A420: 0A44442F
	v_mul_f32_e32 v35, s47, v35                                // 00000000A424: 0A46462F
	v_cmp_u_f32_e64 s[74:75], v34, v34                         // 00000000A428: D048004A 00024522
	v_bfe_u32 v226, v34, 16, 1                                 // 00000000A430: D1C800E2 02052122
	v_add3_u32 v226, v34, v226, v229                           // 00000000A438: D1FF00E2 0797C522
	v_cndmask_b32_e64 v32, v226, v228, s[74:75]                // 00000000A440: D1000020 012BC9E2
	v_lshrrev_b32_e32 v32, 16, v32                             // 00000000A448: 20404090
	v_cmp_u_f32_e64 s[74:75], v35, v35                         // 00000000A44C: D048004A 00024723
	v_bfe_u32 v226, v35, 16, 1                                 // 00000000A454: D1C800E2 02052123
	v_add3_u32 v226, v35, v226, v229                           // 00000000A45C: D1FF00E2 0797C523
	v_cndmask_b32_e64 v33, v226, v228, s[74:75]                // 00000000A464: D1000021 012BC9E2
	v_and_or_b32 v61, v33, v227, v32                           // 00000000A46C: D201003D 0483C721
	v_accvgpr_read_b32 v34, a132                               // 00000000A474: D3D84022 18000184
	v_accvgpr_read_b32 v35, a133                               // 00000000A47C: D3D84023 18000185
	v_mul_f32_e32 v34, s47, v34                                // 00000000A484: 0A44442F
	v_mul_f32_e32 v35, s47, v35                                // 00000000A488: 0A46462F
	v_cmp_u_f32_e64 s[74:75], v34, v34                         // 00000000A48C: D048004A 00024522
	v_bfe_u32 v226, v34, 16, 1                                 // 00000000A494: D1C800E2 02052122
	v_add3_u32 v226, v34, v226, v229                           // 00000000A49C: D1FF00E2 0797C522
	v_cndmask_b32_e64 v32, v226, v228, s[74:75]                // 00000000A4A4: D1000020 012BC9E2
	v_lshrrev_b32_e32 v32, 16, v32                             // 00000000A4AC: 20404090
	v_cmp_u_f32_e64 s[74:75], v35, v35                         // 00000000A4B0: D048004A 00024723
	v_bfe_u32 v226, v35, 16, 1                                 // 00000000A4B8: D1C800E2 02052123
	v_add3_u32 v226, v35, v226, v229                           // 00000000A4C0: D1FF00E2 0797C523
	v_cndmask_b32_e64 v33, v226, v228, s[74:75]                // 00000000A4C8: D1000021 012BC9E2
	v_and_or_b32 v62, v33, v227, v32                           // 00000000A4D0: D201003E 0483C721
	v_accvgpr_read_b32 v34, a134                               // 00000000A4D8: D3D84022 18000186
	v_accvgpr_read_b32 v35, a135                               // 00000000A4E0: D3D84023 18000187
	v_mul_f32_e32 v34, s47, v34                                // 00000000A4E8: 0A44442F
	v_mul_f32_e32 v35, s47, v35                                // 00000000A4EC: 0A46462F
	v_cmp_u_f32_e64 s[74:75], v34, v34                         // 00000000A4F0: D048004A 00024522
	v_bfe_u32 v226, v34, 16, 1                                 // 00000000A4F8: D1C800E2 02052122
	v_add3_u32 v226, v34, v226, v229                           // 00000000A500: D1FF00E2 0797C522
	v_cndmask_b32_e64 v32, v226, v228, s[74:75]                // 00000000A508: D1000020 012BC9E2
	v_lshrrev_b32_e32 v32, 16, v32                             // 00000000A510: 20404090
	v_cmp_u_f32_e64 s[74:75], v35, v35                         // 00000000A514: D048004A 00024723
	v_bfe_u32 v226, v35, 16, 1                                 // 00000000A51C: D1C800E2 02052123
	v_add3_u32 v226, v35, v226, v229                           // 00000000A524: D1FF00E2 0797C523
	v_cndmask_b32_e64 v33, v226, v228, s[74:75]                // 00000000A52C: D1000021 012BC9E2
	v_and_or_b32 v63, v33, v227, v32                           // 00000000A534: D201003F 0483C721
	v_accvgpr_read_b32 v34, a136                               // 00000000A53C: D3D84022 18000188
	v_accvgpr_read_b32 v35, a137                               // 00000000A544: D3D84023 18000189
	v_mul_f32_e32 v34, s47, v34                                // 00000000A54C: 0A44442F
	v_mul_f32_e32 v35, s47, v35                                // 00000000A550: 0A46462F
	v_cmp_u_f32_e64 s[74:75], v34, v34                         // 00000000A554: D048004A 00024522
	v_bfe_u32 v226, v34, 16, 1                                 // 00000000A55C: D1C800E2 02052122
	v_add3_u32 v226, v34, v226, v229                           // 00000000A564: D1FF00E2 0797C522
	v_cndmask_b32_e64 v32, v226, v228, s[74:75]                // 00000000A56C: D1000020 012BC9E2
	v_lshrrev_b32_e32 v32, 16, v32                             // 00000000A574: 20404090
	v_cmp_u_f32_e64 s[74:75], v35, v35                         // 00000000A578: D048004A 00024723
	v_bfe_u32 v226, v35, 16, 1                                 // 00000000A580: D1C800E2 02052123
	v_add3_u32 v226, v35, v226, v229                           // 00000000A588: D1FF00E2 0797C523
	v_cndmask_b32_e64 v33, v226, v228, s[74:75]                // 00000000A590: D1000021 012BC9E2
	v_and_or_b32 v64, v33, v227, v32                           // 00000000A598: D2010040 0483C721
	v_accvgpr_read_b32 v34, a138                               // 00000000A5A0: D3D84022 1800018A
	v_accvgpr_read_b32 v35, a139                               // 00000000A5A8: D3D84023 1800018B
	v_mul_f32_e32 v34, s47, v34                                // 00000000A5B0: 0A44442F
	v_mul_f32_e32 v35, s47, v35                                // 00000000A5B4: 0A46462F
	v_cmp_u_f32_e64 s[74:75], v34, v34                         // 00000000A5B8: D048004A 00024522
	v_bfe_u32 v226, v34, 16, 1                                 // 00000000A5C0: D1C800E2 02052122
	v_add3_u32 v226, v34, v226, v229                           // 00000000A5C8: D1FF00E2 0797C522
	v_cndmask_b32_e64 v32, v226, v228, s[74:75]                // 00000000A5D0: D1000020 012BC9E2
	v_lshrrev_b32_e32 v32, 16, v32                             // 00000000A5D8: 20404090
	v_cmp_u_f32_e64 s[74:75], v35, v35                         // 00000000A5DC: D048004A 00024723
	v_bfe_u32 v226, v35, 16, 1                                 // 00000000A5E4: D1C800E2 02052123
	v_add3_u32 v226, v35, v226, v229                           // 00000000A5EC: D1FF00E2 0797C523
	v_cndmask_b32_e64 v33, v226, v228, s[74:75]                // 00000000A5F4: D1000021 012BC9E2
	v_and_or_b32 v65, v33, v227, v32                           // 00000000A5FC: D2010041 0483C721
	v_accvgpr_read_b32 v34, a140                               // 00000000A604: D3D84022 1800018C
	v_accvgpr_read_b32 v35, a141                               // 00000000A60C: D3D84023 1800018D
	v_mul_f32_e32 v34, s47, v34                                // 00000000A614: 0A44442F
	v_mul_f32_e32 v35, s47, v35                                // 00000000A618: 0A46462F
	v_cmp_u_f32_e64 s[74:75], v34, v34                         // 00000000A61C: D048004A 00024522
	v_bfe_u32 v226, v34, 16, 1                                 // 00000000A624: D1C800E2 02052122
	v_add3_u32 v226, v34, v226, v229                           // 00000000A62C: D1FF00E2 0797C522
	v_cndmask_b32_e64 v32, v226, v228, s[74:75]                // 00000000A634: D1000020 012BC9E2
	v_lshrrev_b32_e32 v32, 16, v32                             // 00000000A63C: 20404090
	v_cmp_u_f32_e64 s[74:75], v35, v35                         // 00000000A640: D048004A 00024723
	v_bfe_u32 v226, v35, 16, 1                                 // 00000000A648: D1C800E2 02052123
	v_add3_u32 v226, v35, v226, v229                           // 00000000A650: D1FF00E2 0797C523
	v_cndmask_b32_e64 v33, v226, v228, s[74:75]                // 00000000A658: D1000021 012BC9E2
	v_and_or_b32 v66, v33, v227, v32                           // 00000000A660: D2010042 0483C721
	v_accvgpr_read_b32 v34, a142                               // 00000000A668: D3D84022 1800018E
	v_accvgpr_read_b32 v35, a143                               // 00000000A670: D3D84023 1800018F
	v_mul_f32_e32 v34, s47, v34                                // 00000000A678: 0A44442F
	v_mul_f32_e32 v35, s47, v35                                // 00000000A67C: 0A46462F
	v_cmp_u_f32_e64 s[74:75], v34, v34                         // 00000000A680: D048004A 00024522
	v_bfe_u32 v226, v34, 16, 1                                 // 00000000A688: D1C800E2 02052122
	v_add3_u32 v226, v34, v226, v229                           // 00000000A690: D1FF00E2 0797C522
	v_cndmask_b32_e64 v32, v226, v228, s[74:75]                // 00000000A698: D1000020 012BC9E2
	v_lshrrev_b32_e32 v32, 16, v32                             // 00000000A6A0: 20404090
	v_cmp_u_f32_e64 s[74:75], v35, v35                         // 00000000A6A4: D048004A 00024723
	v_bfe_u32 v226, v35, 16, 1                                 // 00000000A6AC: D1C800E2 02052123
	v_add3_u32 v226, v35, v226, v229                           // 00000000A6B4: D1FF00E2 0797C523
	v_cndmask_b32_e64 v33, v226, v228, s[74:75]                // 00000000A6BC: D1000021 012BC9E2
	v_and_or_b32 v67, v33, v227, v32                           // 00000000A6C4: D2010043 0483C721
	ds_write_b64 v27, v[60:61] offset:8704                     // 00000000A6CC: D89A2200 00003C1B
	ds_write_b64 v27, v[62:63] offset:9248                     // 00000000A6D4: D89A2420 00003E1B
	ds_write_b64 v27, v[64:65] offset:9792                     // 00000000A6DC: D89A2640 0000401B
	ds_write_b64 v27, v[66:67] offset:10336                    // 00000000A6E4: D89A2860 0000421B
	s_waitcnt lgkmcnt(0)                                       // 00000000A6EC: BF8CC07F
	s_barrier                                                  // 00000000A6F0: BF8A0000
	ds_read_b64 v[60:61], v26 offset:8704                      // 00000000A6F4: D8EC2200 3C00001A
	ds_read_b64 v[62:63], v26 offset:8832                      // 00000000A6FC: D8EC2280 3E00001A
	ds_read_b64 v[64:65], v26 offset:8768                      // 00000000A704: D8EC2240 4000001A
	ds_read_b64 v[66:67], v26 offset:8896                      // 00000000A70C: D8EC22C0 4200001A
	s_waitcnt lgkmcnt(0)                                       // 00000000A714: BF8CC07F
	s_mov_b32 s70, s52                                         // 00000000A718: BEC60034
	buffer_store_dwordx4 v[60:63], v5, s[36:39], 0 idxen       // 00000000A71C: E07C2000 80093C05
	s_mul_i32 s60, 2, s70                                      // 00000000A724: 923C4682
	v_add_u32_e32 v5, s60, v5                                  // 00000000A728: 680A0A3C
	buffer_store_dwordx4 v[64:67], v5, s[36:39], 0 idxen       // 00000000A72C: E07C2000 80094005
	s_mul_i32 s60, 2, s70                                      // 00000000A734: 923C4682
	v_add_u32_e32 v5, s60, v5                                  // 00000000A738: 680A0A3C
	s_mul_i32 s60, 12, s70                                     // 00000000A73C: 923C468C
	v_add_u32_e32 v5, s60, v5                                  // 00000000A740: 680A0A3C
	s_barrier                                                  // 00000000A744: BF8A0000
	s_cmp_ge_i32 2, s73                                        // 00000000A748: BF034982
	s_cbranch_scc1 label_1AE1                                  // 00000000A74C: BF8500E9
	v_accvgpr_read_b32 v34, a144                               // 00000000A750: D3D84022 18000190
	v_accvgpr_read_b32 v35, a145                               // 00000000A758: D3D84023 18000191
	v_mul_f32_e32 v34, s47, v34                                // 00000000A760: 0A44442F
	v_mul_f32_e32 v35, s47, v35                                // 00000000A764: 0A46462F
	v_cmp_u_f32_e64 s[74:75], v34, v34                         // 00000000A768: D048004A 00024522
	v_bfe_u32 v226, v34, 16, 1                                 // 00000000A770: D1C800E2 02052122
	v_add3_u32 v226, v34, v226, v229                           // 00000000A778: D1FF00E2 0797C522
	v_cndmask_b32_e64 v32, v226, v228, s[74:75]                // 00000000A780: D1000020 012BC9E2
	v_lshrrev_b32_e32 v32, 16, v32                             // 00000000A788: 20404090
	v_cmp_u_f32_e64 s[74:75], v35, v35                         // 00000000A78C: D048004A 00024723
	v_bfe_u32 v226, v35, 16, 1                                 // 00000000A794: D1C800E2 02052123
	v_add3_u32 v226, v35, v226, v229                           // 00000000A79C: D1FF00E2 0797C523
	v_cndmask_b32_e64 v33, v226, v228, s[74:75]                // 00000000A7A4: D1000021 012BC9E2
	v_and_or_b32 v68, v33, v227, v32                           // 00000000A7AC: D2010044 0483C721
	v_accvgpr_read_b32 v34, a146                               // 00000000A7B4: D3D84022 18000192
	v_accvgpr_read_b32 v35, a147                               // 00000000A7BC: D3D84023 18000193
	v_mul_f32_e32 v34, s47, v34                                // 00000000A7C4: 0A44442F
	v_mul_f32_e32 v35, s47, v35                                // 00000000A7C8: 0A46462F
	v_cmp_u_f32_e64 s[74:75], v34, v34                         // 00000000A7CC: D048004A 00024522
	v_bfe_u32 v226, v34, 16, 1                                 // 00000000A7D4: D1C800E2 02052122
	v_add3_u32 v226, v34, v226, v229                           // 00000000A7DC: D1FF00E2 0797C522
	v_cndmask_b32_e64 v32, v226, v228, s[74:75]                // 00000000A7E4: D1000020 012BC9E2
	v_lshrrev_b32_e32 v32, 16, v32                             // 00000000A7EC: 20404090
	v_cmp_u_f32_e64 s[74:75], v35, v35                         // 00000000A7F0: D048004A 00024723
	v_bfe_u32 v226, v35, 16, 1                                 // 00000000A7F8: D1C800E2 02052123
	v_add3_u32 v226, v35, v226, v229                           // 00000000A800: D1FF00E2 0797C523
	v_cndmask_b32_e64 v33, v226, v228, s[74:75]                // 00000000A808: D1000021 012BC9E2
	v_and_or_b32 v69, v33, v227, v32                           // 00000000A810: D2010045 0483C721
	v_accvgpr_read_b32 v34, a148                               // 00000000A818: D3D84022 18000194
	v_accvgpr_read_b32 v35, a149                               // 00000000A820: D3D84023 18000195
	v_mul_f32_e32 v34, s47, v34                                // 00000000A828: 0A44442F
	v_mul_f32_e32 v35, s47, v35                                // 00000000A82C: 0A46462F
	v_cmp_u_f32_e64 s[74:75], v34, v34                         // 00000000A830: D048004A 00024522
	v_bfe_u32 v226, v34, 16, 1                                 // 00000000A838: D1C800E2 02052122
	v_add3_u32 v226, v34, v226, v229                           // 00000000A840: D1FF00E2 0797C522
	v_cndmask_b32_e64 v32, v226, v228, s[74:75]                // 00000000A848: D1000020 012BC9E2
	v_lshrrev_b32_e32 v32, 16, v32                             // 00000000A850: 20404090
	v_cmp_u_f32_e64 s[74:75], v35, v35                         // 00000000A854: D048004A 00024723
	v_bfe_u32 v226, v35, 16, 1                                 // 00000000A85C: D1C800E2 02052123
	v_add3_u32 v226, v35, v226, v229                           // 00000000A864: D1FF00E2 0797C523
	v_cndmask_b32_e64 v33, v226, v228, s[74:75]                // 00000000A86C: D1000021 012BC9E2
	v_and_or_b32 v70, v33, v227, v32                           // 00000000A874: D2010046 0483C721
	v_accvgpr_read_b32 v34, a150                               // 00000000A87C: D3D84022 18000196
	v_accvgpr_read_b32 v35, a151                               // 00000000A884: D3D84023 18000197
	v_mul_f32_e32 v34, s47, v34                                // 00000000A88C: 0A44442F
	v_mul_f32_e32 v35, s47, v35                                // 00000000A890: 0A46462F
	v_cmp_u_f32_e64 s[74:75], v34, v34                         // 00000000A894: D048004A 00024522
	v_bfe_u32 v226, v34, 16, 1                                 // 00000000A89C: D1C800E2 02052122
	v_add3_u32 v226, v34, v226, v229                           // 00000000A8A4: D1FF00E2 0797C522
	v_cndmask_b32_e64 v32, v226, v228, s[74:75]                // 00000000A8AC: D1000020 012BC9E2
	v_lshrrev_b32_e32 v32, 16, v32                             // 00000000A8B4: 20404090
	v_cmp_u_f32_e64 s[74:75], v35, v35                         // 00000000A8B8: D048004A 00024723
	v_bfe_u32 v226, v35, 16, 1                                 // 00000000A8C0: D1C800E2 02052123
	v_add3_u32 v226, v35, v226, v229                           // 00000000A8C8: D1FF00E2 0797C523
	v_cndmask_b32_e64 v33, v226, v228, s[74:75]                // 00000000A8D0: D1000021 012BC9E2
	v_and_or_b32 v71, v33, v227, v32                           // 00000000A8D8: D2010047 0483C721
	v_accvgpr_read_b32 v34, a152                               // 00000000A8E0: D3D84022 18000198
	v_accvgpr_read_b32 v35, a153                               // 00000000A8E8: D3D84023 18000199
	v_mul_f32_e32 v34, s47, v34                                // 00000000A8F0: 0A44442F
	v_mul_f32_e32 v35, s47, v35                                // 00000000A8F4: 0A46462F
	v_cmp_u_f32_e64 s[74:75], v34, v34                         // 00000000A8F8: D048004A 00024522
	v_bfe_u32 v226, v34, 16, 1                                 // 00000000A900: D1C800E2 02052122
	v_add3_u32 v226, v34, v226, v229                           // 00000000A908: D1FF00E2 0797C522
	v_cndmask_b32_e64 v32, v226, v228, s[74:75]                // 00000000A910: D1000020 012BC9E2
	v_lshrrev_b32_e32 v32, 16, v32                             // 00000000A918: 20404090
	v_cmp_u_f32_e64 s[74:75], v35, v35                         // 00000000A91C: D048004A 00024723
	v_bfe_u32 v226, v35, 16, 1                                 // 00000000A924: D1C800E2 02052123
	v_add3_u32 v226, v35, v226, v229                           // 00000000A92C: D1FF00E2 0797C523
	v_cndmask_b32_e64 v33, v226, v228, s[74:75]                // 00000000A934: D1000021 012BC9E2
	v_and_or_b32 v72, v33, v227, v32                           // 00000000A93C: D2010048 0483C721
	v_accvgpr_read_b32 v34, a154                               // 00000000A944: D3D84022 1800019A
	v_accvgpr_read_b32 v35, a155                               // 00000000A94C: D3D84023 1800019B
	v_mul_f32_e32 v34, s47, v34                                // 00000000A954: 0A44442F
	v_mul_f32_e32 v35, s47, v35                                // 00000000A958: 0A46462F
	v_cmp_u_f32_e64 s[74:75], v34, v34                         // 00000000A95C: D048004A 00024522
	v_bfe_u32 v226, v34, 16, 1                                 // 00000000A964: D1C800E2 02052122
	v_add3_u32 v226, v34, v226, v229                           // 00000000A96C: D1FF00E2 0797C522
	v_cndmask_b32_e64 v32, v226, v228, s[74:75]                // 00000000A974: D1000020 012BC9E2
	v_lshrrev_b32_e32 v32, 16, v32                             // 00000000A97C: 20404090
	v_cmp_u_f32_e64 s[74:75], v35, v35                         // 00000000A980: D048004A 00024723
	v_bfe_u32 v226, v35, 16, 1                                 // 00000000A988: D1C800E2 02052123
	v_add3_u32 v226, v35, v226, v229                           // 00000000A990: D1FF00E2 0797C523
	v_cndmask_b32_e64 v33, v226, v228, s[74:75]                // 00000000A998: D1000021 012BC9E2
	v_and_or_b32 v73, v33, v227, v32                           // 00000000A9A0: D2010049 0483C721
	v_accvgpr_read_b32 v34, a156                               // 00000000A9A8: D3D84022 1800019C
	v_accvgpr_read_b32 v35, a157                               // 00000000A9B0: D3D84023 1800019D
	v_mul_f32_e32 v34, s47, v34                                // 00000000A9B8: 0A44442F
	v_mul_f32_e32 v35, s47, v35                                // 00000000A9BC: 0A46462F
	v_cmp_u_f32_e64 s[74:75], v34, v34                         // 00000000A9C0: D048004A 00024522
	v_bfe_u32 v226, v34, 16, 1                                 // 00000000A9C8: D1C800E2 02052122
	v_add3_u32 v226, v34, v226, v229                           // 00000000A9D0: D1FF00E2 0797C522
	v_cndmask_b32_e64 v32, v226, v228, s[74:75]                // 00000000A9D8: D1000020 012BC9E2
	v_lshrrev_b32_e32 v32, 16, v32                             // 00000000A9E0: 20404090
	v_cmp_u_f32_e64 s[74:75], v35, v35                         // 00000000A9E4: D048004A 00024723
	v_bfe_u32 v226, v35, 16, 1                                 // 00000000A9EC: D1C800E2 02052123
	v_add3_u32 v226, v35, v226, v229                           // 00000000A9F4: D1FF00E2 0797C523
	v_cndmask_b32_e64 v33, v226, v228, s[74:75]                // 00000000A9FC: D1000021 012BC9E2
	v_and_or_b32 v74, v33, v227, v32                           // 00000000AA04: D201004A 0483C721
	v_accvgpr_read_b32 v34, a158                               // 00000000AA0C: D3D84022 1800019E
	v_accvgpr_read_b32 v35, a159                               // 00000000AA14: D3D84023 1800019F
	v_mul_f32_e32 v34, s47, v34                                // 00000000AA1C: 0A44442F
	v_mul_f32_e32 v35, s47, v35                                // 00000000AA20: 0A46462F
	v_cmp_u_f32_e64 s[74:75], v34, v34                         // 00000000AA24: D048004A 00024522
	v_bfe_u32 v226, v34, 16, 1                                 // 00000000AA2C: D1C800E2 02052122
	v_add3_u32 v226, v34, v226, v229                           // 00000000AA34: D1FF00E2 0797C522
	v_cndmask_b32_e64 v32, v226, v228, s[74:75]                // 00000000AA3C: D1000020 012BC9E2
	v_lshrrev_b32_e32 v32, 16, v32                             // 00000000AA44: 20404090
	v_cmp_u_f32_e64 s[74:75], v35, v35                         // 00000000AA48: D048004A 00024723
	v_bfe_u32 v226, v35, 16, 1                                 // 00000000AA50: D1C800E2 02052123
	v_add3_u32 v226, v35, v226, v229                           // 00000000AA58: D1FF00E2 0797C523
	v_cndmask_b32_e64 v33, v226, v228, s[74:75]                // 00000000AA60: D1000021 012BC9E2
	v_and_or_b32 v75, v33, v227, v32                           // 00000000AA68: D201004B 0483C721
	ds_write_b64 v27, v[68:69] offset:17408                    // 00000000AA70: D89A4400 0000441B
	ds_write_b64 v27, v[70:71] offset:17952                    // 00000000AA78: D89A4620 0000461B
	ds_write_b64 v27, v[72:73] offset:18496                    // 00000000AA80: D89A4840 0000481B
	ds_write_b64 v27, v[74:75] offset:19040                    // 00000000AA88: D89A4A60 00004A1B
	s_waitcnt lgkmcnt(0)                                       // 00000000AA90: BF8CC07F
	s_barrier                                                  // 00000000AA94: BF8A0000
	ds_read_b64 v[68:69], v26 offset:17408                     // 00000000AA98: D8EC4400 4400001A
	ds_read_b64 v[70:71], v26 offset:17536                     // 00000000AAA0: D8EC4480 4600001A
	ds_read_b64 v[72:73], v26 offset:17472                     // 00000000AAA8: D8EC4440 4800001A
	ds_read_b64 v[74:75], v26 offset:17600                     // 00000000AAB0: D8EC44C0 4A00001A
	s_waitcnt lgkmcnt(0)                                       // 00000000AAB8: BF8CC07F
	s_mov_b32 s70, s52                                         // 00000000AABC: BEC60034
	buffer_store_dwordx4 v[68:71], v5, s[36:39], 0 idxen       // 00000000AAC0: E07C2000 80094405
	s_mul_i32 s60, 2, s70                                      // 00000000AAC8: 923C4682
	v_add_u32_e32 v5, s60, v5                                  // 00000000AACC: 680A0A3C
	buffer_store_dwordx4 v[72:75], v5, s[36:39], 0 idxen       // 00000000AAD0: E07C2000 80094805
	s_mul_i32 s60, 2, s70                                      // 00000000AAD8: 923C4682
	v_add_u32_e32 v5, s60, v5                                  // 00000000AADC: 680A0A3C
	s_mul_i32 s60, 12, s70                                     // 00000000AAE0: 923C468C
	v_add_u32_e32 v5, s60, v5                                  // 00000000AAE4: 680A0A3C
	s_barrier                                                  // 00000000AAE8: BF8A0000
	s_cmp_ge_i32 3, s73                                        // 00000000AAEC: BF034983
	s_cbranch_scc1 label_1AE1                                  // 00000000AAF0: BF850000

000000000000aaf4 <label_1AE1>:
	v_mov_b32_e32 v34, v178                                    // 00000000AAF4: 7E4403B2
	v_mov_b32_e32 v35, v179                                    // 00000000AAF8: 7E4603B3
	v_cmp_u_f32_e64 s[74:75], v34, v34                         // 00000000AAFC: D048004A 00024522
	v_bfe_u32 v226, v34, 16, 1                                 // 00000000AB04: D1C800E2 02052122
	v_add3_u32 v226, v34, v226, v229                           // 00000000AB0C: D1FF00E2 0797C522
	v_cndmask_b32_e64 v32, v226, v228, s[74:75]                // 00000000AB14: D1000020 012BC9E2
	v_lshrrev_b32_e32 v32, 16, v32                             // 00000000AB1C: 20404090
	v_cmp_u_f32_e64 s[74:75], v35, v35                         // 00000000AB20: D048004A 00024723
	v_bfe_u32 v226, v35, 16, 1                                 // 00000000AB28: D1C800E2 02052123
	v_add3_u32 v226, v35, v226, v229                           // 00000000AB30: D1FF00E2 0797C523
	v_cndmask_b32_e64 v33, v226, v228, s[74:75]                // 00000000AB38: D1000021 012BC9E2
	v_and_or_b32 v178, v33, v227, v32                          // 00000000AB40: D20100B2 0483C721
	v_mov_b32_e32 v34, v180                                    // 00000000AB48: 7E4403B4
	v_mov_b32_e32 v35, v181                                    // 00000000AB4C: 7E4603B5
	v_cmp_u_f32_e64 s[74:75], v34, v34                         // 00000000AB50: D048004A 00024522
	v_bfe_u32 v226, v34, 16, 1                                 // 00000000AB58: D1C800E2 02052122
	v_add3_u32 v226, v34, v226, v229                           // 00000000AB60: D1FF00E2 0797C522
	v_cndmask_b32_e64 v32, v226, v228, s[74:75]                // 00000000AB68: D1000020 012BC9E2
	v_lshrrev_b32_e32 v32, 16, v32                             // 00000000AB70: 20404090
	v_cmp_u_f32_e64 s[74:75], v35, v35                         // 00000000AB74: D048004A 00024723
	v_bfe_u32 v226, v35, 16, 1                                 // 00000000AB7C: D1C800E2 02052123
	v_add3_u32 v226, v35, v226, v229                           // 00000000AB84: D1FF00E2 0797C523
	v_cndmask_b32_e64 v33, v226, v228, s[74:75]                // 00000000AB8C: D1000021 012BC9E2
	v_and_or_b32 v179, v33, v227, v32                          // 00000000AB94: D20100B3 0483C721
	v_mov_b32_e32 v34, v182                                    // 00000000AB9C: 7E4403B6
	v_mov_b32_e32 v35, v183                                    // 00000000ABA0: 7E4603B7
	v_cmp_u_f32_e64 s[74:75], v34, v34                         // 00000000ABA4: D048004A 00024522
	v_bfe_u32 v226, v34, 16, 1                                 // 00000000ABAC: D1C800E2 02052122
	v_add3_u32 v226, v34, v226, v229                           // 00000000ABB4: D1FF00E2 0797C522
	v_cndmask_b32_e64 v32, v226, v228, s[74:75]                // 00000000ABBC: D1000020 012BC9E2
	v_lshrrev_b32_e32 v32, 16, v32                             // 00000000ABC4: 20404090
	v_cmp_u_f32_e64 s[74:75], v35, v35                         // 00000000ABC8: D048004A 00024723
	v_bfe_u32 v226, v35, 16, 1                                 // 00000000ABD0: D1C800E2 02052123
	v_add3_u32 v226, v35, v226, v229                           // 00000000ABD8: D1FF00E2 0797C523
	v_cndmask_b32_e64 v33, v226, v228, s[74:75]                // 00000000ABE0: D1000021 012BC9E2
	v_and_or_b32 v180, v33, v227, v32                          // 00000000ABE8: D20100B4 0483C721
	v_mov_b32_e32 v34, v184                                    // 00000000ABF0: 7E4403B8
	v_mov_b32_e32 v35, v185                                    // 00000000ABF4: 7E4603B9
	v_cmp_u_f32_e64 s[74:75], v34, v34                         // 00000000ABF8: D048004A 00024522
	v_bfe_u32 v226, v34, 16, 1                                 // 00000000AC00: D1C800E2 02052122
	v_add3_u32 v226, v34, v226, v229                           // 00000000AC08: D1FF00E2 0797C522
	v_cndmask_b32_e64 v32, v226, v228, s[74:75]                // 00000000AC10: D1000020 012BC9E2
	v_lshrrev_b32_e32 v32, 16, v32                             // 00000000AC18: 20404090
	v_cmp_u_f32_e64 s[74:75], v35, v35                         // 00000000AC1C: D048004A 00024723
	v_bfe_u32 v226, v35, 16, 1                                 // 00000000AC24: D1C800E2 02052123
	v_add3_u32 v226, v35, v226, v229                           // 00000000AC2C: D1FF00E2 0797C523
	v_cndmask_b32_e64 v33, v226, v228, s[74:75]                // 00000000AC34: D1000021 012BC9E2
	v_and_or_b32 v181, v33, v227, v32                          // 00000000AC3C: D20100B5 0483C721
	v_mov_b32_e32 v34, v186                                    // 00000000AC44: 7E4403BA
	v_mov_b32_e32 v35, v187                                    // 00000000AC48: 7E4603BB
	v_cmp_u_f32_e64 s[74:75], v34, v34                         // 00000000AC4C: D048004A 00024522
	v_bfe_u32 v226, v34, 16, 1                                 // 00000000AC54: D1C800E2 02052122
	v_add3_u32 v226, v34, v226, v229                           // 00000000AC5C: D1FF00E2 0797C522
	v_cndmask_b32_e64 v32, v226, v228, s[74:75]                // 00000000AC64: D1000020 012BC9E2
	v_lshrrev_b32_e32 v32, 16, v32                             // 00000000AC6C: 20404090
	v_cmp_u_f32_e64 s[74:75], v35, v35                         // 00000000AC70: D048004A 00024723
	v_bfe_u32 v226, v35, 16, 1                                 // 00000000AC78: D1C800E2 02052123
	v_add3_u32 v226, v35, v226, v229                           // 00000000AC80: D1FF00E2 0797C523
	v_cndmask_b32_e64 v33, v226, v228, s[74:75]                // 00000000AC88: D1000021 012BC9E2
	v_and_or_b32 v182, v33, v227, v32                          // 00000000AC90: D20100B6 0483C721
	v_mov_b32_e32 v34, v188                                    // 00000000AC98: 7E4403BC
	v_mov_b32_e32 v35, v189                                    // 00000000AC9C: 7E4603BD
	v_cmp_u_f32_e64 s[74:75], v34, v34                         // 00000000ACA0: D048004A 00024522
	v_bfe_u32 v226, v34, 16, 1                                 // 00000000ACA8: D1C800E2 02052122
	v_add3_u32 v226, v34, v226, v229                           // 00000000ACB0: D1FF00E2 0797C522
	v_cndmask_b32_e64 v32, v226, v228, s[74:75]                // 00000000ACB8: D1000020 012BC9E2
	v_lshrrev_b32_e32 v32, 16, v32                             // 00000000ACC0: 20404090
	v_cmp_u_f32_e64 s[74:75], v35, v35                         // 00000000ACC4: D048004A 00024723
	v_bfe_u32 v226, v35, 16, 1                                 // 00000000ACCC: D1C800E2 02052123
	v_add3_u32 v226, v35, v226, v229                           // 00000000ACD4: D1FF00E2 0797C523
	v_cndmask_b32_e64 v33, v226, v228, s[74:75]                // 00000000ACDC: D1000021 012BC9E2
	v_and_or_b32 v183, v33, v227, v32                          // 00000000ACE4: D20100B7 0483C721
	v_mov_b32_e32 v34, v190                                    // 00000000ACEC: 7E4403BE
	v_mov_b32_e32 v35, v191                                    // 00000000ACF0: 7E4603BF
	v_cmp_u_f32_e64 s[74:75], v34, v34                         // 00000000ACF4: D048004A 00024522
	v_bfe_u32 v226, v34, 16, 1                                 // 00000000ACFC: D1C800E2 02052122
	v_add3_u32 v226, v34, v226, v229                           // 00000000AD04: D1FF00E2 0797C522
	v_cndmask_b32_e64 v32, v226, v228, s[74:75]                // 00000000AD0C: D1000020 012BC9E2
	v_lshrrev_b32_e32 v32, 16, v32                             // 00000000AD14: 20404090
	v_cmp_u_f32_e64 s[74:75], v35, v35                         // 00000000AD18: D048004A 00024723
	v_bfe_u32 v226, v35, 16, 1                                 // 00000000AD20: D1C800E2 02052123
	v_add3_u32 v226, v35, v226, v229                           // 00000000AD28: D1FF00E2 0797C523
	v_cndmask_b32_e64 v33, v226, v228, s[74:75]                // 00000000AD30: D1000021 012BC9E2
	v_and_or_b32 v184, v33, v227, v32                          // 00000000AD38: D20100B8 0483C721
	v_mov_b32_e32 v34, v192                                    // 00000000AD40: 7E4403C0
	v_mov_b32_e32 v35, v193                                    // 00000000AD44: 7E4603C1
	v_cmp_u_f32_e64 s[74:75], v34, v34                         // 00000000AD48: D048004A 00024522
	v_bfe_u32 v226, v34, 16, 1                                 // 00000000AD50: D1C800E2 02052122
	v_add3_u32 v226, v34, v226, v229                           // 00000000AD58: D1FF00E2 0797C522
	v_cndmask_b32_e64 v32, v226, v228, s[74:75]                // 00000000AD60: D1000020 012BC9E2
	v_lshrrev_b32_e32 v32, 16, v32                             // 00000000AD68: 20404090
	v_cmp_u_f32_e64 s[74:75], v35, v35                         // 00000000AD6C: D048004A 00024723
	v_bfe_u32 v226, v35, 16, 1                                 // 00000000AD74: D1C800E2 02052123
	v_add3_u32 v226, v35, v226, v229                           // 00000000AD7C: D1FF00E2 0797C523
	v_cndmask_b32_e64 v33, v226, v228, s[74:75]                // 00000000AD84: D1000021 012BC9E2
	v_and_or_b32 v185, v33, v227, v32                          // 00000000AD8C: D20100B9 0483C721
	ds_write_b64 v27, v[178:179]                               // 00000000AD94: D89A0000 0000B21B
	ds_write_b64 v27, v[180:181] offset:544                    // 00000000AD9C: D89A0220 0000B41B
	ds_write_b64 v27, v[182:183] offset:1088                   // 00000000ADA4: D89A0440 0000B61B
	ds_write_b64 v27, v[184:185] offset:1632                   // 00000000ADAC: D89A0660 0000B81B
	s_waitcnt lgkmcnt(0)                                       // 00000000ADB4: BF8CC07F
	s_barrier                                                  // 00000000ADB8: BF8A0000
	ds_read_b64 v[178:179], v26                                // 00000000ADBC: D8EC0000 B200001A
	ds_read_b64 v[180:181], v26 offset:128                     // 00000000ADC4: D8EC0080 B400001A
	ds_read_b64 v[182:183], v26 offset:64                      // 00000000ADCC: D8EC0040 B600001A
	ds_read_b64 v[184:185], v26 offset:192                     // 00000000ADD4: D8EC00C0 B800001A
	s_waitcnt lgkmcnt(0)                                       // 00000000ADDC: BF8CC07F
	s_mov_b32 s70, s53                                         // 00000000ADE0: BEC60035
	buffer_store_dwordx4 v[178:181], v10, s[40:43], 0 idxen    // 00000000ADE4: E07C2000 800AB20A
	s_mul_i32 s60, 2, s70                                      // 00000000ADEC: 923C4682
	v_add_u32_e32 v10, s60, v10                                // 00000000ADF0: 6814143C
	buffer_store_dwordx4 v[182:185], v10, s[40:43], 0 idxen    // 00000000ADF4: E07C2000 800AB60A
	s_mul_i32 s60, 2, s70                                      // 00000000ADFC: 923C4682
	v_add_u32_e32 v10, s60, v10                                // 00000000AE00: 6814143C
	s_mul_i32 s60, 12, s70                                     // 00000000AE04: 923C468C
	v_add_u32_e32 v10, s60, v10                                // 00000000AE08: 6814143C
	s_cmp_ge_i32 1, s73                                        // 00000000AE0C: BF034981
	s_cbranch_scc1 label_1D39                                  // 00000000AE10: BF850190
	v_mov_b32_e32 v34, v194                                    // 00000000AE14: 7E4403C2
	v_mov_b32_e32 v35, v195                                    // 00000000AE18: 7E4603C3
	v_cmp_u_f32_e64 s[74:75], v34, v34                         // 00000000AE1C: D048004A 00024522
	v_bfe_u32 v226, v34, 16, 1                                 // 00000000AE24: D1C800E2 02052122
	v_add3_u32 v226, v34, v226, v229                           // 00000000AE2C: D1FF00E2 0797C522
	v_cndmask_b32_e64 v32, v226, v228, s[74:75]                // 00000000AE34: D1000020 012BC9E2
	v_lshrrev_b32_e32 v32, 16, v32                             // 00000000AE3C: 20404090
	v_cmp_u_f32_e64 s[74:75], v35, v35                         // 00000000AE40: D048004A 00024723
	v_bfe_u32 v226, v35, 16, 1                                 // 00000000AE48: D1C800E2 02052123
	v_add3_u32 v226, v35, v226, v229                           // 00000000AE50: D1FF00E2 0797C523
	v_cndmask_b32_e64 v33, v226, v228, s[74:75]                // 00000000AE58: D1000021 012BC9E2
	v_and_or_b32 v186, v33, v227, v32                          // 00000000AE60: D20100BA 0483C721
	v_mov_b32_e32 v34, v196                                    // 00000000AE68: 7E4403C4
	v_mov_b32_e32 v35, v197                                    // 00000000AE6C: 7E4603C5
	v_cmp_u_f32_e64 s[74:75], v34, v34                         // 00000000AE70: D048004A 00024522
	v_bfe_u32 v226, v34, 16, 1                                 // 00000000AE78: D1C800E2 02052122
	v_add3_u32 v226, v34, v226, v229                           // 00000000AE80: D1FF00E2 0797C522
	v_cndmask_b32_e64 v32, v226, v228, s[74:75]                // 00000000AE88: D1000020 012BC9E2
	v_lshrrev_b32_e32 v32, 16, v32                             // 00000000AE90: 20404090
	v_cmp_u_f32_e64 s[74:75], v35, v35                         // 00000000AE94: D048004A 00024723
	v_bfe_u32 v226, v35, 16, 1                                 // 00000000AE9C: D1C800E2 02052123
	v_add3_u32 v226, v35, v226, v229                           // 00000000AEA4: D1FF00E2 0797C523
	v_cndmask_b32_e64 v33, v226, v228, s[74:75]                // 00000000AEAC: D1000021 012BC9E2
	v_and_or_b32 v187, v33, v227, v32                          // 00000000AEB4: D20100BB 0483C721
	v_mov_b32_e32 v34, v198                                    // 00000000AEBC: 7E4403C6
	v_mov_b32_e32 v35, v199                                    // 00000000AEC0: 7E4603C7
	v_cmp_u_f32_e64 s[74:75], v34, v34                         // 00000000AEC4: D048004A 00024522
	v_bfe_u32 v226, v34, 16, 1                                 // 00000000AECC: D1C800E2 02052122
	v_add3_u32 v226, v34, v226, v229                           // 00000000AED4: D1FF00E2 0797C522
	v_cndmask_b32_e64 v32, v226, v228, s[74:75]                // 00000000AEDC: D1000020 012BC9E2
	v_lshrrev_b32_e32 v32, 16, v32                             // 00000000AEE4: 20404090
	v_cmp_u_f32_e64 s[74:75], v35, v35                         // 00000000AEE8: D048004A 00024723
	v_bfe_u32 v226, v35, 16, 1                                 // 00000000AEF0: D1C800E2 02052123
	v_add3_u32 v226, v35, v226, v229                           // 00000000AEF8: D1FF00E2 0797C523
	v_cndmask_b32_e64 v33, v226, v228, s[74:75]                // 00000000AF00: D1000021 012BC9E2
	v_and_or_b32 v188, v33, v227, v32                          // 00000000AF08: D20100BC 0483C721
	v_mov_b32_e32 v34, v200                                    // 00000000AF10: 7E4403C8
	v_mov_b32_e32 v35, v201                                    // 00000000AF14: 7E4603C9
	v_cmp_u_f32_e64 s[74:75], v34, v34                         // 00000000AF18: D048004A 00024522
	v_bfe_u32 v226, v34, 16, 1                                 // 00000000AF20: D1C800E2 02052122
	v_add3_u32 v226, v34, v226, v229                           // 00000000AF28: D1FF00E2 0797C522
	v_cndmask_b32_e64 v32, v226, v228, s[74:75]                // 00000000AF30: D1000020 012BC9E2
	v_lshrrev_b32_e32 v32, 16, v32                             // 00000000AF38: 20404090
	v_cmp_u_f32_e64 s[74:75], v35, v35                         // 00000000AF3C: D048004A 00024723
	v_bfe_u32 v226, v35, 16, 1                                 // 00000000AF44: D1C800E2 02052123
	v_add3_u32 v226, v35, v226, v229                           // 00000000AF4C: D1FF00E2 0797C523
	v_cndmask_b32_e64 v33, v226, v228, s[74:75]                // 00000000AF54: D1000021 012BC9E2
	v_and_or_b32 v189, v33, v227, v32                          // 00000000AF5C: D20100BD 0483C721
	v_mov_b32_e32 v34, v202                                    // 00000000AF64: 7E4403CA
	v_mov_b32_e32 v35, v203                                    // 00000000AF68: 7E4603CB
	v_cmp_u_f32_e64 s[74:75], v34, v34                         // 00000000AF6C: D048004A 00024522
	v_bfe_u32 v226, v34, 16, 1                                 // 00000000AF74: D1C800E2 02052122
	v_add3_u32 v226, v34, v226, v229                           // 00000000AF7C: D1FF00E2 0797C522
	v_cndmask_b32_e64 v32, v226, v228, s[74:75]                // 00000000AF84: D1000020 012BC9E2
	v_lshrrev_b32_e32 v32, 16, v32                             // 00000000AF8C: 20404090
	v_cmp_u_f32_e64 s[74:75], v35, v35                         // 00000000AF90: D048004A 00024723
	v_bfe_u32 v226, v35, 16, 1                                 // 00000000AF98: D1C800E2 02052123
	v_add3_u32 v226, v35, v226, v229                           // 00000000AFA0: D1FF00E2 0797C523
	v_cndmask_b32_e64 v33, v226, v228, s[74:75]                // 00000000AFA8: D1000021 012BC9E2
	v_and_or_b32 v190, v33, v227, v32                          // 00000000AFB0: D20100BE 0483C721
	v_mov_b32_e32 v34, v204                                    // 00000000AFB8: 7E4403CC
	v_mov_b32_e32 v35, v205                                    // 00000000AFBC: 7E4603CD
	v_cmp_u_f32_e64 s[74:75], v34, v34                         // 00000000AFC0: D048004A 00024522
	v_bfe_u32 v226, v34, 16, 1                                 // 00000000AFC8: D1C800E2 02052122
	v_add3_u32 v226, v34, v226, v229                           // 00000000AFD0: D1FF00E2 0797C522
	v_cndmask_b32_e64 v32, v226, v228, s[74:75]                // 00000000AFD8: D1000020 012BC9E2
	v_lshrrev_b32_e32 v32, 16, v32                             // 00000000AFE0: 20404090
	v_cmp_u_f32_e64 s[74:75], v35, v35                         // 00000000AFE4: D048004A 00024723
	v_bfe_u32 v226, v35, 16, 1                                 // 00000000AFEC: D1C800E2 02052123
	v_add3_u32 v226, v35, v226, v229                           // 00000000AFF4: D1FF00E2 0797C523
	v_cndmask_b32_e64 v33, v226, v228, s[74:75]                // 00000000AFFC: D1000021 012BC9E2
	v_and_or_b32 v191, v33, v227, v32                          // 00000000B004: D20100BF 0483C721
	v_mov_b32_e32 v34, v206                                    // 00000000B00C: 7E4403CE
	v_mov_b32_e32 v35, v207                                    // 00000000B010: 7E4603CF
	v_cmp_u_f32_e64 s[74:75], v34, v34                         // 00000000B014: D048004A 00024522
	v_bfe_u32 v226, v34, 16, 1                                 // 00000000B01C: D1C800E2 02052122
	v_add3_u32 v226, v34, v226, v229                           // 00000000B024: D1FF00E2 0797C522
	v_cndmask_b32_e64 v32, v226, v228, s[74:75]                // 00000000B02C: D1000020 012BC9E2
	v_lshrrev_b32_e32 v32, 16, v32                             // 00000000B034: 20404090
	v_cmp_u_f32_e64 s[74:75], v35, v35                         // 00000000B038: D048004A 00024723
	v_bfe_u32 v226, v35, 16, 1                                 // 00000000B040: D1C800E2 02052123
	v_add3_u32 v226, v35, v226, v229                           // 00000000B048: D1FF00E2 0797C523
	v_cndmask_b32_e64 v33, v226, v228, s[74:75]                // 00000000B050: D1000021 012BC9E2
	v_and_or_b32 v192, v33, v227, v32                          // 00000000B058: D20100C0 0483C721
	v_mov_b32_e32 v34, v208                                    // 00000000B060: 7E4403D0
	v_mov_b32_e32 v35, v209                                    // 00000000B064: 7E4603D1
	v_cmp_u_f32_e64 s[74:75], v34, v34                         // 00000000B068: D048004A 00024522
	v_bfe_u32 v226, v34, 16, 1                                 // 00000000B070: D1C800E2 02052122
	v_add3_u32 v226, v34, v226, v229                           // 00000000B078: D1FF00E2 0797C522
	v_cndmask_b32_e64 v32, v226, v228, s[74:75]                // 00000000B080: D1000020 012BC9E2
	v_lshrrev_b32_e32 v32, 16, v32                             // 00000000B088: 20404090
	v_cmp_u_f32_e64 s[74:75], v35, v35                         // 00000000B08C: D048004A 00024723
	v_bfe_u32 v226, v35, 16, 1                                 // 00000000B094: D1C800E2 02052123
	v_add3_u32 v226, v35, v226, v229                           // 00000000B09C: D1FF00E2 0797C523
	v_cndmask_b32_e64 v33, v226, v228, s[74:75]                // 00000000B0A4: D1000021 012BC9E2
	v_and_or_b32 v193, v33, v227, v32                          // 00000000B0AC: D20100C1 0483C721
	ds_write_b64 v27, v[186:187] offset:8704                   // 00000000B0B4: D89A2200 0000BA1B
	ds_write_b64 v27, v[188:189] offset:9248                   // 00000000B0BC: D89A2420 0000BC1B
	ds_write_b64 v27, v[190:191] offset:9792                   // 00000000B0C4: D89A2640 0000BE1B
	ds_write_b64 v27, v[192:193] offset:10336                  // 00000000B0CC: D89A2860 0000C01B
	s_waitcnt lgkmcnt(0)                                       // 00000000B0D4: BF8CC07F
	s_barrier                                                  // 00000000B0D8: BF8A0000
	ds_read_b64 v[186:187], v26 offset:8704                    // 00000000B0DC: D8EC2200 BA00001A
	ds_read_b64 v[188:189], v26 offset:8832                    // 00000000B0E4: D8EC2280 BC00001A
	ds_read_b64 v[190:191], v26 offset:8768                    // 00000000B0EC: D8EC2240 BE00001A
	ds_read_b64 v[192:193], v26 offset:8896                    // 00000000B0F4: D8EC22C0 C000001A
	s_waitcnt lgkmcnt(0)                                       // 00000000B0FC: BF8CC07F
	s_mov_b32 s70, s53                                         // 00000000B100: BEC60035
	buffer_store_dwordx4 v[186:189], v10, s[40:43], 0 idxen    // 00000000B104: E07C2000 800ABA0A
	s_mul_i32 s60, 2, s70                                      // 00000000B10C: 923C4682
	v_add_u32_e32 v10, s60, v10                                // 00000000B110: 6814143C
	buffer_store_dwordx4 v[190:193], v10, s[40:43], 0 idxen    // 00000000B114: E07C2000 800ABE0A
	s_mul_i32 s60, 2, s70                                      // 00000000B11C: 923C4682
	v_add_u32_e32 v10, s60, v10                                // 00000000B120: 6814143C
	s_mul_i32 s60, 12, s70                                     // 00000000B124: 923C468C
	v_add_u32_e32 v10, s60, v10                                // 00000000B128: 6814143C
	s_cmp_ge_i32 2, s73                                        // 00000000B12C: BF034982
	s_cbranch_scc1 label_1D39                                  // 00000000B130: BF8500C8
	v_mov_b32_e32 v34, v210                                    // 00000000B134: 7E4403D2
	v_mov_b32_e32 v35, v211                                    // 00000000B138: 7E4603D3
	v_cmp_u_f32_e64 s[74:75], v34, v34                         // 00000000B13C: D048004A 00024522
	v_bfe_u32 v226, v34, 16, 1                                 // 00000000B144: D1C800E2 02052122
	v_add3_u32 v226, v34, v226, v229                           // 00000000B14C: D1FF00E2 0797C522
	v_cndmask_b32_e64 v32, v226, v228, s[74:75]                // 00000000B154: D1000020 012BC9E2
	v_lshrrev_b32_e32 v32, 16, v32                             // 00000000B15C: 20404090
	v_cmp_u_f32_e64 s[74:75], v35, v35                         // 00000000B160: D048004A 00024723
	v_bfe_u32 v226, v35, 16, 1                                 // 00000000B168: D1C800E2 02052123
	v_add3_u32 v226, v35, v226, v229                           // 00000000B170: D1FF00E2 0797C523
	v_cndmask_b32_e64 v33, v226, v228, s[74:75]                // 00000000B178: D1000021 012BC9E2
	v_and_or_b32 v194, v33, v227, v32                          // 00000000B180: D20100C2 0483C721
	v_mov_b32_e32 v34, v212                                    // 00000000B188: 7E4403D4
	v_mov_b32_e32 v35, v213                                    // 00000000B18C: 7E4603D5
	v_cmp_u_f32_e64 s[74:75], v34, v34                         // 00000000B190: D048004A 00024522
	v_bfe_u32 v226, v34, 16, 1                                 // 00000000B198: D1C800E2 02052122
	v_add3_u32 v226, v34, v226, v229                           // 00000000B1A0: D1FF00E2 0797C522
	v_cndmask_b32_e64 v32, v226, v228, s[74:75]                // 00000000B1A8: D1000020 012BC9E2
	v_lshrrev_b32_e32 v32, 16, v32                             // 00000000B1B0: 20404090
	v_cmp_u_f32_e64 s[74:75], v35, v35                         // 00000000B1B4: D048004A 00024723
	v_bfe_u32 v226, v35, 16, 1                                 // 00000000B1BC: D1C800E2 02052123
	v_add3_u32 v226, v35, v226, v229                           // 00000000B1C4: D1FF00E2 0797C523
	v_cndmask_b32_e64 v33, v226, v228, s[74:75]                // 00000000B1CC: D1000021 012BC9E2
	v_and_or_b32 v195, v33, v227, v32                          // 00000000B1D4: D20100C3 0483C721
	v_mov_b32_e32 v34, v214                                    // 00000000B1DC: 7E4403D6
	v_mov_b32_e32 v35, v215                                    // 00000000B1E0: 7E4603D7
	v_cmp_u_f32_e64 s[74:75], v34, v34                         // 00000000B1E4: D048004A 00024522
	v_bfe_u32 v226, v34, 16, 1                                 // 00000000B1EC: D1C800E2 02052122
	v_add3_u32 v226, v34, v226, v229                           // 00000000B1F4: D1FF00E2 0797C522
	v_cndmask_b32_e64 v32, v226, v228, s[74:75]                // 00000000B1FC: D1000020 012BC9E2
	v_lshrrev_b32_e32 v32, 16, v32                             // 00000000B204: 20404090
	v_cmp_u_f32_e64 s[74:75], v35, v35                         // 00000000B208: D048004A 00024723
	v_bfe_u32 v226, v35, 16, 1                                 // 00000000B210: D1C800E2 02052123
	v_add3_u32 v226, v35, v226, v229                           // 00000000B218: D1FF00E2 0797C523
	v_cndmask_b32_e64 v33, v226, v228, s[74:75]                // 00000000B220: D1000021 012BC9E2
	v_and_or_b32 v196, v33, v227, v32                          // 00000000B228: D20100C4 0483C721
	v_mov_b32_e32 v34, v216                                    // 00000000B230: 7E4403D8
	v_mov_b32_e32 v35, v217                                    // 00000000B234: 7E4603D9
	v_cmp_u_f32_e64 s[74:75], v34, v34                         // 00000000B238: D048004A 00024522
	v_bfe_u32 v226, v34, 16, 1                                 // 00000000B240: D1C800E2 02052122
	v_add3_u32 v226, v34, v226, v229                           // 00000000B248: D1FF00E2 0797C522
	v_cndmask_b32_e64 v32, v226, v228, s[74:75]                // 00000000B250: D1000020 012BC9E2
	v_lshrrev_b32_e32 v32, 16, v32                             // 00000000B258: 20404090
	v_cmp_u_f32_e64 s[74:75], v35, v35                         // 00000000B25C: D048004A 00024723
	v_bfe_u32 v226, v35, 16, 1                                 // 00000000B264: D1C800E2 02052123
	v_add3_u32 v226, v35, v226, v229                           // 00000000B26C: D1FF00E2 0797C523
	v_cndmask_b32_e64 v33, v226, v228, s[74:75]                // 00000000B274: D1000021 012BC9E2
	v_and_or_b32 v197, v33, v227, v32                          // 00000000B27C: D20100C5 0483C721
	v_mov_b32_e32 v34, v218                                    // 00000000B284: 7E4403DA
	v_mov_b32_e32 v35, v219                                    // 00000000B288: 7E4603DB
	v_cmp_u_f32_e64 s[74:75], v34, v34                         // 00000000B28C: D048004A 00024522
	v_bfe_u32 v226, v34, 16, 1                                 // 00000000B294: D1C800E2 02052122
	v_add3_u32 v226, v34, v226, v229                           // 00000000B29C: D1FF00E2 0797C522
	v_cndmask_b32_e64 v32, v226, v228, s[74:75]                // 00000000B2A4: D1000020 012BC9E2
	v_lshrrev_b32_e32 v32, 16, v32                             // 00000000B2AC: 20404090
	v_cmp_u_f32_e64 s[74:75], v35, v35                         // 00000000B2B0: D048004A 00024723
	v_bfe_u32 v226, v35, 16, 1                                 // 00000000B2B8: D1C800E2 02052123
	v_add3_u32 v226, v35, v226, v229                           // 00000000B2C0: D1FF00E2 0797C523
	v_cndmask_b32_e64 v33, v226, v228, s[74:75]                // 00000000B2C8: D1000021 012BC9E2
	v_and_or_b32 v198, v33, v227, v32                          // 00000000B2D0: D20100C6 0483C721
	v_mov_b32_e32 v34, v220                                    // 00000000B2D8: 7E4403DC
	v_mov_b32_e32 v35, v221                                    // 00000000B2DC: 7E4603DD
	v_cmp_u_f32_e64 s[74:75], v34, v34                         // 00000000B2E0: D048004A 00024522
	v_bfe_u32 v226, v34, 16, 1                                 // 00000000B2E8: D1C800E2 02052122
	v_add3_u32 v226, v34, v226, v229                           // 00000000B2F0: D1FF00E2 0797C522
	v_cndmask_b32_e64 v32, v226, v228, s[74:75]                // 00000000B2F8: D1000020 012BC9E2
	v_lshrrev_b32_e32 v32, 16, v32                             // 00000000B300: 20404090
	v_cmp_u_f32_e64 s[74:75], v35, v35                         // 00000000B304: D048004A 00024723
	v_bfe_u32 v226, v35, 16, 1                                 // 00000000B30C: D1C800E2 02052123
	v_add3_u32 v226, v35, v226, v229                           // 00000000B314: D1FF00E2 0797C523
	v_cndmask_b32_e64 v33, v226, v228, s[74:75]                // 00000000B31C: D1000021 012BC9E2
	v_and_or_b32 v199, v33, v227, v32                          // 00000000B324: D20100C7 0483C721
	v_mov_b32_e32 v34, v222                                    // 00000000B32C: 7E4403DE
	v_mov_b32_e32 v35, v223                                    // 00000000B330: 7E4603DF
	v_cmp_u_f32_e64 s[74:75], v34, v34                         // 00000000B334: D048004A 00024522
	v_bfe_u32 v226, v34, 16, 1                                 // 00000000B33C: D1C800E2 02052122
	v_add3_u32 v226, v34, v226, v229                           // 00000000B344: D1FF00E2 0797C522
	v_cndmask_b32_e64 v32, v226, v228, s[74:75]                // 00000000B34C: D1000020 012BC9E2
	v_lshrrev_b32_e32 v32, 16, v32                             // 00000000B354: 20404090
	v_cmp_u_f32_e64 s[74:75], v35, v35                         // 00000000B358: D048004A 00024723
	v_bfe_u32 v226, v35, 16, 1                                 // 00000000B360: D1C800E2 02052123
	v_add3_u32 v226, v35, v226, v229                           // 00000000B368: D1FF00E2 0797C523
	v_cndmask_b32_e64 v33, v226, v228, s[74:75]                // 00000000B370: D1000021 012BC9E2
	v_and_or_b32 v200, v33, v227, v32                          // 00000000B378: D20100C8 0483C721
	v_mov_b32_e32 v34, v224                                    // 00000000B380: 7E4403E0
	v_mov_b32_e32 v35, v225                                    // 00000000B384: 7E4603E1
	v_cmp_u_f32_e64 s[74:75], v34, v34                         // 00000000B388: D048004A 00024522
	v_bfe_u32 v226, v34, 16, 1                                 // 00000000B390: D1C800E2 02052122
	v_add3_u32 v226, v34, v226, v229                           // 00000000B398: D1FF00E2 0797C522
	v_cndmask_b32_e64 v32, v226, v228, s[74:75]                // 00000000B3A0: D1000020 012BC9E2
	v_lshrrev_b32_e32 v32, 16, v32                             // 00000000B3A8: 20404090
	v_cmp_u_f32_e64 s[74:75], v35, v35                         // 00000000B3AC: D048004A 00024723
	v_bfe_u32 v226, v35, 16, 1                                 // 00000000B3B4: D1C800E2 02052123
	v_add3_u32 v226, v35, v226, v229                           // 00000000B3BC: D1FF00E2 0797C523
	v_cndmask_b32_e64 v33, v226, v228, s[74:75]                // 00000000B3C4: D1000021 012BC9E2
	v_and_or_b32 v201, v33, v227, v32                          // 00000000B3CC: D20100C9 0483C721
	ds_write_b64 v27, v[194:195] offset:17408                  // 00000000B3D4: D89A4400 0000C21B
	ds_write_b64 v27, v[196:197] offset:17952                  // 00000000B3DC: D89A4620 0000C41B
	ds_write_b64 v27, v[198:199] offset:18496                  // 00000000B3E4: D89A4840 0000C61B
	ds_write_b64 v27, v[200:201] offset:19040                  // 00000000B3EC: D89A4A60 0000C81B
	s_waitcnt lgkmcnt(0)                                       // 00000000B3F4: BF8CC07F
	s_barrier                                                  // 00000000B3F8: BF8A0000
	ds_read_b64 v[194:195], v26 offset:17408                   // 00000000B3FC: D8EC4400 C200001A
	ds_read_b64 v[196:197], v26 offset:17536                   // 00000000B404: D8EC4480 C400001A
	ds_read_b64 v[198:199], v26 offset:17472                   // 00000000B40C: D8EC4440 C600001A
	ds_read_b64 v[200:201], v26 offset:17600                   // 00000000B414: D8EC44C0 C800001A
	s_waitcnt lgkmcnt(0)                                       // 00000000B41C: BF8CC07F
	s_mov_b32 s70, s53                                         // 00000000B420: BEC60035
	buffer_store_dwordx4 v[194:197], v10, s[40:43], 0 idxen    // 00000000B424: E07C2000 800AC20A
	s_mul_i32 s60, 2, s70                                      // 00000000B42C: 923C4682
	v_add_u32_e32 v10, s60, v10                                // 00000000B430: 6814143C
	buffer_store_dwordx4 v[198:201], v10, s[40:43], 0 idxen    // 00000000B434: E07C2000 800AC60A
	s_mul_i32 s60, 2, s70                                      // 00000000B43C: 923C4682
	v_add_u32_e32 v10, s60, v10                                // 00000000B440: 6814143C
	s_mul_i32 s60, 12, s70                                     // 00000000B444: 923C468C
	v_add_u32_e32 v10, s60, v10                                // 00000000B448: 6814143C
	s_cmp_ge_i32 3, s73                                        // 00000000B44C: BF034983
	s_cbranch_scc1 label_1D39                                  // 00000000B450: BF850000

000000000000b454 <label_1D39>:
	s_waitcnt vmcnt(0) expcnt(0) lgkmcnt(0)                    // 00000000B454: BF8C0000
	s_endpgm                                                   // 00000000B458: BF810000
